;; amdgpu-corpus repo=ROCm/rocFFT kind=compiled arch=gfx1030 opt=O3
	.text
	.amdgcn_target "amdgcn-amd-amdhsa--gfx1030"
	.amdhsa_code_object_version 6
	.protected	bluestein_single_back_len405_dim1_dp_op_CI_CI ; -- Begin function bluestein_single_back_len405_dim1_dp_op_CI_CI
	.globl	bluestein_single_back_len405_dim1_dp_op_CI_CI
	.p2align	8
	.type	bluestein_single_back_len405_dim1_dp_op_CI_CI,@function
bluestein_single_back_len405_dim1_dp_op_CI_CI: ; @bluestein_single_back_len405_dim1_dp_op_CI_CI
; %bb.0:
	s_load_dwordx4 s[12:15], s[4:5], 0x28
	v_mul_u32_u24_e32 v1, 0x97c, v0
	s_mov_b64 s[26:27], s[2:3]
	s_mov_b64 s[24:25], s[0:1]
	v_mov_b32_e32 v2, 0
	s_add_u32 s24, s24, s7
	v_lshrrev_b32_e32 v3, 16, v1
	s_addc_u32 s25, s25, 0
	s_mov_b32 s0, exec_lo
	v_lshl_add_u32 v1, s6, 2, v3
	s_waitcnt lgkmcnt(0)
	v_cmpx_gt_u64_e64 s[12:13], v[1:2]
	s_cbranch_execz .LBB0_2
; %bb.1:
	s_clause 0x2
	s_load_dwordx4 s[8:11], s[4:5], 0x0
	s_load_dwordx4 s[16:19], s[4:5], 0x18
	s_load_dwordx2 s[12:13], s[4:5], 0x38
	v_and_b32_e32 v2, 3, v3
	v_mov_b32_e32 v164, 5
	v_mul_u32_u24_e32 v7, 0x195, v2
	v_lshlrev_b32_e32 v43, 4, v7
	s_waitcnt lgkmcnt(0)
	s_load_dwordx4 s[0:3], s[18:19], 0x0
	s_mov_b32 s19, 0xbfee6f0e
	s_waitcnt lgkmcnt(0)
	v_mad_u64_u32 v[8:9], null, s2, v1, 0
	v_mov_b32_e32 v2, v9
	v_mad_u64_u32 v[4:5], null, s3, v1, v[2:3]
	v_mov_b32_e32 v9, v4
	buffer_store_dword v8, off, s[24:27], 0 offset:160 ; 4-byte Folded Spill
	buffer_store_dword v9, off, s[24:27], 0 offset:164 ; 4-byte Folded Spill
	s_load_dwordx4 s[4:7], s[16:17], 0x0
	s_mov_b32 s16, 0x4755a5e
	s_mov_b32 s17, 0x3fe2cf23
	s_waitcnt lgkmcnt(0)
	v_mad_u64_u32 v[4:5], null, s6, v1, 0
	s_mul_hi_u32 s3, s4, 0x510
	v_mov_b32_e32 v2, v5
	v_mad_u64_u32 v[1:2], null, s7, v1, v[2:3]
	v_mov_b32_e32 v5, v1
	v_mul_lo_u16 v1, v3, 27
	v_sub_nc_u16 v19, v0, v1
	v_and_b32_e32 v55, 0xffff, v19
	v_mad_u64_u32 v[0:1], null, s4, v55, 0
	v_add_co_u32 v41, s6, v55, 27
	v_add_co_ci_u32_e64 v18, null, 0, 0, s6
	s_mov_b32 s6, 0x134454ff
	s_mov_b32 s7, 0x3fee6f0e
	v_mad_u64_u32 v[1:2], null, s5, v55, v[1:2]
	v_lshlrev_b64 v[2:3], 4, v[4:5]
	v_lshlrev_b32_e32 v4, 4, v55
	s_mov_b32 s18, s6
	v_add_co_u32 v196, null, v55, 54
	v_add_co_u32 v40, null, 0x51, v55
	global_load_dwordx4 v[11:14], v4, s[8:9]
	v_lshlrev_b64 v[0:1], 4, v[0:1]
	v_add_co_u32 v2, vcc_lo, s14, v2
	v_add_co_ci_u32_e32 v3, vcc_lo, s15, v3, vcc_lo
	v_add_co_u32 v49, s2, s8, v4
	v_add_co_u32 v9, vcc_lo, v2, v0
	v_add_co_ci_u32_e32 v10, vcc_lo, v3, v1, vcc_lo
	v_add_co_ci_u32_e64 v39, null, s9, 0, s2
	s_mul_i32 s2, s5, 0x510
	global_load_dwordx4 v[0:3], v[9:10], off
	s_add_i32 s2, s3, s2
	s_mul_i32 s3, s4, 0x510
	v_add_nc_u32_e32 v44, v43, v4
	v_add_co_u32 v9, vcc_lo, v9, s3
	v_add_co_ci_u32_e32 v10, vcc_lo, s2, v10, vcc_lo
	s_mulk_i32 s5, 0xed70
	s_mov_b32 s15, 0xbfe2cf23
	s_sub_i32 s5, s5, s4
	s_mov_b32 s14, s16
	v_and_b32_e32 v165, 0xff, v40
	v_add_co_u32 v42, null, 0x6c, v55
	s_waitcnt vmcnt(1)
	buffer_store_dword v11, off, s[24:27], 0 offset:168 ; 4-byte Folded Spill
	buffer_store_dword v12, off, s[24:27], 0 offset:172 ; 4-byte Folded Spill
	;; [unrolled: 1-line block ×4, first 2 shown]
	v_and_b32_e32 v172, 0xff, v42
	s_waitcnt vmcnt(0)
	v_mul_f64 v[5:6], v[2:3], v[13:14]
	v_fma_f64 v[5:6], v[0:1], v[11:12], v[5:6]
	v_mul_f64 v[0:1], v[0:1], v[13:14]
	v_fma_f64 v[7:8], v[2:3], v[11:12], -v[0:1]
	ds_write_b128 v44, v[5:8]
	global_load_dwordx4 v[0:3], v[9:10], off
	global_load_dwordx4 v[11:14], v4, s[8:9] offset:1296
	s_waitcnt vmcnt(0)
	buffer_store_dword v11, off, s[24:27], 0 offset:184 ; 4-byte Folded Spill
	buffer_store_dword v12, off, s[24:27], 0 offset:188 ; 4-byte Folded Spill
	;; [unrolled: 1-line block ×4, first 2 shown]
	v_mul_f64 v[5:6], v[2:3], v[13:14]
	v_fma_f64 v[5:6], v[0:1], v[11:12], v[5:6]
	v_mul_f64 v[0:1], v[0:1], v[13:14]
	v_fma_f64 v[7:8], v[2:3], v[11:12], -v[0:1]
	v_add_co_u32 v0, vcc_lo, v9, s3
	v_add_co_ci_u32_e32 v1, vcc_lo, s2, v10, vcc_lo
	v_add_co_u32 v2, vcc_lo, 0x800, v49
	v_add_co_ci_u32_e32 v3, vcc_lo, 0, v39, vcc_lo
	global_load_dwordx4 v[11:14], v[2:3], off offset:544
	ds_write_b128 v44, v[5:8] offset:1296
	global_load_dwordx4 v[5:8], v[0:1], off
	v_add_co_u32 v0, vcc_lo, v0, s3
	v_add_co_ci_u32_e32 v1, vcc_lo, s2, v1, vcc_lo
	s_waitcnt vmcnt(1)
	buffer_store_dword v11, off, s[24:27], 0 offset:200 ; 4-byte Folded Spill
	buffer_store_dword v12, off, s[24:27], 0 offset:204 ; 4-byte Folded Spill
	;; [unrolled: 1-line block ×4, first 2 shown]
	s_waitcnt vmcnt(0)
	v_mul_f64 v[9:10], v[7:8], v[13:14]
	v_fma_f64 v[9:10], v[5:6], v[11:12], v[9:10]
	v_mul_f64 v[5:6], v[5:6], v[13:14]
	v_fma_f64 v[11:12], v[7:8], v[11:12], -v[5:6]
	ds_write_b128 v44, v[9:12] offset:2592
	global_load_dwordx4 v[5:8], v[0:1], off
	global_load_dwordx4 v[11:14], v[2:3], off offset:1840
	s_waitcnt vmcnt(0)
	buffer_store_dword v11, off, s[24:27], 0 offset:216 ; 4-byte Folded Spill
	buffer_store_dword v12, off, s[24:27], 0 offset:220 ; 4-byte Folded Spill
	;; [unrolled: 1-line block ×4, first 2 shown]
	v_mul_f64 v[9:10], v[7:8], v[13:14]
	v_fma_f64 v[9:10], v[5:6], v[11:12], v[9:10]
	v_mul_f64 v[5:6], v[5:6], v[13:14]
	v_add_co_u32 v13, vcc_lo, v0, s3
	v_add_co_ci_u32_e32 v14, vcc_lo, s2, v1, vcc_lo
	v_add_co_u32 v0, vcc_lo, 0x1000, v49
	v_add_co_ci_u32_e32 v1, vcc_lo, 0, v39, vcc_lo
	global_load_dwordx4 v[56:59], v[0:1], off offset:1088
	v_fma_f64 v[11:12], v[7:8], v[11:12], -v[5:6]
	global_load_dwordx4 v[5:8], v[13:14], off
	v_mad_u64_u32 v[13:14], null, 0xffffed70, s4, v[13:14]
	v_add_nc_u32_e32 v14, s5, v14
	ds_write_b128 v44, v[9:12] offset:3888
	s_waitcnt vmcnt(0)
	v_mul_f64 v[9:10], v[7:8], v[58:59]
	v_fma_f64 v[9:10], v[5:6], v[56:57], v[9:10]
	v_mul_f64 v[5:6], v[5:6], v[58:59]
	v_fma_f64 v[11:12], v[7:8], v[56:57], -v[5:6]
	ds_write_b128 v44, v[9:12] offset:5184
	global_load_dwordx4 v[5:8], v[13:14], off
	global_load_dwordx4 v[20:23], v4, s[8:9] offset:432
	v_add_co_u32 v13, vcc_lo, v13, s3
	v_add_co_ci_u32_e32 v14, vcc_lo, s2, v14, vcc_lo
	s_waitcnt vmcnt(0)
	buffer_store_dword v20, off, s[24:27], 0 offset:128 ; 4-byte Folded Spill
	buffer_store_dword v21, off, s[24:27], 0 offset:132 ; 4-byte Folded Spill
	;; [unrolled: 1-line block ×4, first 2 shown]
	v_mul_f64 v[9:10], v[7:8], v[22:23]
	v_fma_f64 v[9:10], v[5:6], v[20:21], v[9:10]
	v_mul_f64 v[5:6], v[5:6], v[22:23]
	v_fma_f64 v[11:12], v[7:8], v[20:21], -v[5:6]
	ds_write_b128 v44, v[9:12] offset:432
	global_load_dwordx4 v[5:8], v[13:14], off
	global_load_dwordx4 v[20:23], v4, s[8:9] offset:1728
	v_add_co_u32 v13, vcc_lo, v13, s3
	v_add_co_ci_u32_e32 v14, vcc_lo, s2, v14, vcc_lo
	s_waitcnt vmcnt(0)
	buffer_store_dword v20, off, s[24:27], 0 offset:112 ; 4-byte Folded Spill
	buffer_store_dword v21, off, s[24:27], 0 offset:116 ; 4-byte Folded Spill
	buffer_store_dword v22, off, s[24:27], 0 offset:120 ; 4-byte Folded Spill
	buffer_store_dword v23, off, s[24:27], 0 offset:124 ; 4-byte Folded Spill
	v_mul_f64 v[9:10], v[7:8], v[22:23]
	v_fma_f64 v[9:10], v[5:6], v[20:21], v[9:10]
	v_mul_f64 v[5:6], v[5:6], v[22:23]
	v_fma_f64 v[11:12], v[7:8], v[20:21], -v[5:6]
	ds_write_b128 v44, v[9:12] offset:1728
	global_load_dwordx4 v[5:8], v[13:14], off
	global_load_dwordx4 v[20:23], v[2:3], off offset:976
	v_add_co_u32 v13, vcc_lo, v13, s3
	v_add_co_ci_u32_e32 v14, vcc_lo, s2, v14, vcc_lo
	s_waitcnt vmcnt(0)
	buffer_store_dword v20, off, s[24:27], 0 offset:96 ; 4-byte Folded Spill
	buffer_store_dword v21, off, s[24:27], 0 offset:100 ; 4-byte Folded Spill
	buffer_store_dword v22, off, s[24:27], 0 offset:104 ; 4-byte Folded Spill
	buffer_store_dword v23, off, s[24:27], 0 offset:108 ; 4-byte Folded Spill
	v_mul_f64 v[9:10], v[7:8], v[22:23]
	v_fma_f64 v[9:10], v[5:6], v[20:21], v[9:10]
	v_mul_f64 v[5:6], v[5:6], v[22:23]
	v_fma_f64 v[11:12], v[7:8], v[20:21], -v[5:6]
	ds_write_b128 v44, v[9:12] offset:3024
	global_load_dwordx4 v[5:8], v[13:14], off
	global_load_dwordx4 v[20:23], v[0:1], off offset:224
	;; [unrolled: 14-line block ×3, first 2 shown]
	v_mad_u64_u32 v[13:14], null, 0xffffed70, s4, v[13:14]
	s_waitcnt vmcnt(0)
	buffer_store_dword v20, off, s[24:27], 0 offset:64 ; 4-byte Folded Spill
	buffer_store_dword v21, off, s[24:27], 0 offset:68 ; 4-byte Folded Spill
	;; [unrolled: 1-line block ×4, first 2 shown]
	v_add_nc_u32_e32 v14, s5, v14
	s_mov_b32 s5, 0xbfebb67a
	v_mul_f64 v[9:10], v[7:8], v[22:23]
	v_fma_f64 v[9:10], v[5:6], v[20:21], v[9:10]
	v_mul_f64 v[5:6], v[5:6], v[22:23]
	v_fma_f64 v[11:12], v[7:8], v[20:21], -v[5:6]
	ds_write_b128 v44, v[9:12] offset:5616
	global_load_dwordx4 v[5:8], v[13:14], off
	global_load_dwordx4 v[20:23], v4, s[8:9] offset:864
	s_mov_b32 s8, 0x372fe950
	s_mov_b32 s9, 0x3fd3c6ef
	s_waitcnt vmcnt(0)
	buffer_store_dword v20, off, s[24:27], 0 offset:48 ; 4-byte Folded Spill
	buffer_store_dword v21, off, s[24:27], 0 offset:52 ; 4-byte Folded Spill
	;; [unrolled: 1-line block ×4, first 2 shown]
	v_mul_f64 v[9:10], v[7:8], v[22:23]
	v_fma_f64 v[9:10], v[5:6], v[20:21], v[9:10]
	v_mul_f64 v[4:5], v[5:6], v[22:23]
	v_fma_f64 v[11:12], v[7:8], v[20:21], -v[4:5]
	ds_write_b128 v44, v[9:12] offset:864
	v_add_co_u32 v12, vcc_lo, v13, s3
	v_add_co_ci_u32_e32 v13, vcc_lo, s2, v14, vcc_lo
	global_load_dwordx4 v[4:7], v[12:13], off
	global_load_dwordx4 v[14:17], v[2:3], off offset:112
	s_waitcnt vmcnt(0)
	buffer_store_dword v14, off, s[24:27], 0 offset:144 ; 4-byte Folded Spill
	buffer_store_dword v15, off, s[24:27], 0 offset:148 ; 4-byte Folded Spill
	;; [unrolled: 1-line block ×4, first 2 shown]
	v_mul_f64 v[8:9], v[6:7], v[16:17]
	v_fma_f64 v[8:9], v[4:5], v[14:15], v[8:9]
	v_mul_f64 v[4:5], v[4:5], v[16:17]
	v_fma_f64 v[10:11], v[6:7], v[14:15], -v[4:5]
	ds_write_b128 v44, v[8:11] offset:2160
	v_add_co_u32 v8, vcc_lo, v12, s3
	v_add_co_ci_u32_e32 v9, vcc_lo, s2, v13, vcc_lo
	global_load_dwordx4 v[4:7], v[8:9], off
	global_load_dwordx4 v[10:13], v[2:3], off offset:1408
	s_waitcnt vmcnt(0)
	buffer_store_dword v10, off, s[24:27], 0 offset:16 ; 4-byte Folded Spill
	buffer_store_dword v11, off, s[24:27], 0 offset:20 ; 4-byte Folded Spill
	buffer_store_dword v12, off, s[24:27], 0 offset:24 ; 4-byte Folded Spill
	buffer_store_dword v13, off, s[24:27], 0 offset:28 ; 4-byte Folded Spill
	v_mul_f64 v[2:3], v[6:7], v[12:13]
	v_fma_f64 v[2:3], v[4:5], v[10:11], v[2:3]
	v_mul_f64 v[4:5], v[4:5], v[12:13]
	v_fma_f64 v[4:5], v[6:7], v[10:11], -v[4:5]
	v_add_co_u32 v10, vcc_lo, v8, s3
	v_add_co_ci_u32_e32 v11, vcc_lo, s2, v9, vcc_lo
	ds_write_b128 v44, v[2:5] offset:3456
	global_load_dwordx4 v[2:5], v[10:11], off
	global_load_dwordx4 v[12:15], v[0:1], off offset:656
	s_waitcnt vmcnt(0)
	buffer_store_dword v12, off, s[24:27], 0 ; 4-byte Folded Spill
	buffer_store_dword v13, off, s[24:27], 0 offset:4 ; 4-byte Folded Spill
	buffer_store_dword v14, off, s[24:27], 0 offset:8 ; 4-byte Folded Spill
	;; [unrolled: 1-line block ×3, first 2 shown]
	v_mul_f64 v[6:7], v[4:5], v[14:15]
	v_fma_f64 v[6:7], v[2:3], v[12:13], v[6:7]
	v_mul_f64 v[2:3], v[2:3], v[14:15]
	v_fma_f64 v[8:9], v[4:5], v[12:13], -v[2:3]
	v_add_co_u32 v2, vcc_lo, v10, s3
	v_add_co_ci_u32_e32 v3, vcc_lo, s2, v11, vcc_lo
	s_mov_b32 s2, 0xe8584caa
	s_mov_b32 s3, 0x3febb67a
	;; [unrolled: 1-line block ×3, first 2 shown]
	v_cmp_gt_u16_e32 vcc_lo, 15, v19
	ds_write_b128 v44, v[6:9] offset:4752
	global_load_dwordx4 v[2:5], v[2:3], off
	global_load_dwordx4 v[6:9], v[0:1], off offset:1952
	s_waitcnt vmcnt(0)
	v_mul_f64 v[0:1], v[4:5], v[8:9]
	v_fma_f64 v[0:1], v[2:3], v[6:7], v[0:1]
	v_mul_f64 v[2:3], v[2:3], v[8:9]
	buffer_store_dword v6, off, s[24:27], 0 offset:32 ; 4-byte Folded Spill
	buffer_store_dword v7, off, s[24:27], 0 offset:36 ; 4-byte Folded Spill
	;; [unrolled: 1-line block ×4, first 2 shown]
	v_fma_f64 v[2:3], v[4:5], v[6:7], -v[2:3]
	ds_write_b128 v44, v[0:3] offset:6048
	s_waitcnt lgkmcnt(0)
	s_waitcnt_vscnt null, 0x0
	s_barrier
	buffer_gl0_inv
	ds_read_b128 v[0:3], v44
	ds_read_b128 v[4:7], v44 offset:1296
	ds_read_b128 v[24:27], v44 offset:2592
	;; [unrolled: 1-line block ×14, first 2 shown]
	s_waitcnt lgkmcnt(0)
	s_barrier
	buffer_gl0_inv
	v_add_f64 v[8:9], v[0:1], v[4:5]
	v_add_f64 v[64:65], v[4:5], -v[24:25]
	v_add_f64 v[62:63], v[26:27], -v[30:31]
	;; [unrolled: 1-line block ×4, first 2 shown]
	v_add_f64 v[8:9], v[8:9], v[24:25]
	v_add_f64 v[66:67], v[64:65], v[66:67]
	;; [unrolled: 1-line block ×5, first 2 shown]
	v_fma_f64 v[8:9], v[8:9], -0.5, v[0:1]
	v_fma_f64 v[45:46], v[36:37], s[6:7], v[8:9]
	v_fma_f64 v[8:9], v[36:37], s[18:19], v[8:9]
	;; [unrolled: 1-line block ×6, first 2 shown]
	v_add_f64 v[8:9], v[4:5], v[32:33]
	v_add_f64 v[45:46], v[24:25], -v[4:5]
	v_add_f64 v[66:67], v[28:29], -v[32:33]
	;; [unrolled: 1-line block ×6, first 2 shown]
	v_fma_f64 v[0:1], v[8:9], -0.5, v[0:1]
	v_add_f64 v[45:46], v[45:46], v[66:67]
	v_add_f64 v[28:29], v[28:29], v[32:33]
	v_add_f64 v[32:33], v[92:93], -v[88:89]
	v_fma_f64 v[8:9], v[62:63], s[18:19], v[0:1]
	v_fma_f64 v[0:1], v[62:63], s[6:7], v[0:1]
	;; [unrolled: 1-line block ×4, first 2 shown]
	v_add_f64 v[36:37], v[88:89], -v[84:85]
	v_fma_f64 v[72:73], v[45:46], s[8:9], v[8:9]
	v_fma_f64 v[76:77], v[45:46], s[8:9], v[0:1]
	v_add_f64 v[0:1], v[2:3], v[6:7]
	v_add_f64 v[45:46], v[92:93], -v[80:81]
	v_add_f64 v[0:1], v[0:1], v[26:27]
	v_add_f64 v[0:1], v[0:1], v[30:31]
	;; [unrolled: 1-line block ×4, first 2 shown]
	v_fma_f64 v[0:1], v[0:1], -0.5, v[2:3]
	v_fma_f64 v[8:9], v[4:5], s[18:19], v[0:1]
	v_fma_f64 v[0:1], v[4:5], s[6:7], v[0:1]
	v_fma_f64 v[8:9], v[24:25], s[14:15], v[8:9]
	v_fma_f64 v[0:1], v[24:25], s[16:17], v[0:1]
	v_fma_f64 v[66:67], v[28:29], s[8:9], v[8:9]
	v_fma_f64 v[70:71], v[28:29], s[8:9], v[0:1]
	v_add_f64 v[0:1], v[6:7], v[34:35]
	v_add_f64 v[6:7], v[26:27], -v[6:7]
	v_add_f64 v[8:9], v[30:31], -v[34:35]
	;; [unrolled: 1-line block ×6, first 2 shown]
	v_fma_f64 v[0:1], v[0:1], -0.5, v[2:3]
	v_add_f64 v[6:7], v[6:7], v[8:9]
	v_add_f64 v[8:9], v[20:21], -v[102:103]
	v_add_f64 v[28:29], v[28:29], v[30:31]
	v_add_f64 v[30:31], v[84:85], -v[80:81]
	v_add_f64 v[34:35], v[32:33], v[34:35]
	v_fma_f64 v[2:3], v[24:25], s[6:7], v[0:1]
	v_fma_f64 v[0:1], v[24:25], s[18:19], v[0:1]
	v_add_f64 v[24:25], v[14:15], -v[10:11]
	v_fma_f64 v[2:3], v[4:5], s[14:15], v[2:3]
	v_fma_f64 v[0:1], v[4:5], s[16:17], v[0:1]
	v_add_f64 v[24:25], v[8:9], v[24:25]
	v_fma_f64 v[74:75], v[6:7], s[8:9], v[2:3]
	v_add_f64 v[2:3], v[102:103], v[10:11]
	v_fma_f64 v[78:79], v[6:7], s[8:9], v[0:1]
	v_add_f64 v[6:7], v[22:23], -v[16:17]
	v_add_f64 v[0:1], v[106:107], v[20:21]
	v_fma_f64 v[2:3], v[2:3], -0.5, v[106:107]
	v_add_f64 v[0:1], v[0:1], v[102:103]
	v_fma_f64 v[4:5], v[6:7], s[6:7], v[2:3]
	v_fma_f64 v[2:3], v[6:7], s[18:19], v[2:3]
	v_add_f64 v[0:1], v[0:1], v[10:11]
	v_fma_f64 v[4:5], v[26:27], s[16:17], v[4:5]
	v_fma_f64 v[2:3], v[26:27], s[14:15], v[2:3]
	;; [unrolled: 3-line block ×3, first 2 shown]
	v_add_f64 v[2:3], v[20:21], v[14:15]
	v_add_f64 v[14:15], v[20:21], -v[14:15]
	v_fma_f64 v[2:3], v[2:3], -0.5, v[106:107]
	v_fma_f64 v[24:25], v[26:27], s[18:19], v[2:3]
	v_fma_f64 v[2:3], v[26:27], s[6:7], v[2:3]
	v_add_f64 v[26:27], v[16:17], -v[12:13]
	v_fma_f64 v[24:25], v[6:7], s[16:17], v[24:25]
	v_fma_f64 v[2:3], v[6:7], s[14:15], v[2:3]
	v_add_f64 v[6:7], v[104:105], v[12:13]
	v_fma_f64 v[24:25], v[28:29], s[8:9], v[24:25]
	v_fma_f64 v[100:101], v[28:29], s[8:9], v[2:3]
	v_fma_f64 v[6:7], v[6:7], -0.5, v[108:109]
	v_add_f64 v[28:29], v[102:103], -v[10:11]
	v_add_f64 v[2:3], v[108:109], v[22:23]
	v_fma_f64 v[20:21], v[14:15], s[18:19], v[6:7]
	v_fma_f64 v[6:7], v[14:15], s[6:7], v[6:7]
	v_add_f64 v[2:3], v[2:3], v[104:105]
	v_fma_f64 v[10:11], v[28:29], s[14:15], v[20:21]
	v_add_f64 v[20:21], v[22:23], -v[104:105]
	v_fma_f64 v[6:7], v[28:29], s[16:17], v[6:7]
	v_add_f64 v[2:3], v[2:3], v[12:13]
	v_add_f64 v[12:13], v[12:13], -v[16:17]
	v_add_f64 v[20:21], v[20:21], v[26:27]
	v_add_f64 v[2:3], v[2:3], v[16:17]
	v_fma_f64 v[10:11], v[20:21], s[8:9], v[10:11]
	v_fma_f64 v[6:7], v[20:21], s[8:9], v[6:7]
	v_add_f64 v[20:21], v[22:23], v[16:17]
	v_add_f64 v[22:23], v[104:105], -v[22:23]
	v_fma_f64 v[20:21], v[20:21], -0.5, v[108:109]
	v_add_f64 v[12:13], v[22:23], v[12:13]
	v_add_f64 v[22:23], v[94:95], -v[82:83]
	v_fma_f64 v[26:27], v[28:29], s[6:7], v[20:21]
	v_fma_f64 v[16:17], v[28:29], s[18:19], v[20:21]
	v_add_f64 v[28:29], v[88:89], -v[92:93]
	v_fma_f64 v[26:27], v[14:15], s[14:15], v[26:27]
	v_fma_f64 v[14:15], v[14:15], s[16:17], v[16:17]
	v_add_f64 v[16:17], v[90:91], -v[86:87]
	v_add_f64 v[28:29], v[28:29], v[30:31]
	v_fma_f64 v[26:27], v[12:13], s[8:9], v[26:27]
	v_fma_f64 v[102:103], v[12:13], s[8:9], v[14:15]
	v_add_f64 v[14:15], v[92:93], v[80:81]
	v_add_f64 v[12:13], v[96:97], v[88:89]
	v_fma_f64 v[14:15], v[14:15], -0.5, v[96:97]
	v_add_f64 v[12:13], v[12:13], v[92:93]
	v_fma_f64 v[20:21], v[16:17], s[6:7], v[14:15]
	v_fma_f64 v[14:15], v[16:17], s[18:19], v[14:15]
	v_add_f64 v[12:13], v[12:13], v[80:81]
	v_add_f64 v[80:81], v[94:95], -v[90:91]
	v_fma_f64 v[20:21], v[22:23], s[16:17], v[20:21]
	v_fma_f64 v[14:15], v[22:23], s[14:15], v[14:15]
	v_add_f64 v[12:13], v[12:13], v[84:85]
	v_fma_f64 v[20:21], v[28:29], s[8:9], v[20:21]
	v_fma_f64 v[28:29], v[28:29], s[8:9], v[14:15]
	v_add_f64 v[14:15], v[88:89], v[84:85]
	v_fma_f64 v[14:15], v[14:15], -0.5, v[96:97]
	v_fma_f64 v[30:31], v[22:23], s[18:19], v[14:15]
	v_fma_f64 v[14:15], v[22:23], s[6:7], v[14:15]
	v_fma_f64 v[30:31], v[16:17], s[16:17], v[30:31]
	v_fma_f64 v[14:15], v[16:17], s[14:15], v[14:15]
	v_add_f64 v[16:17], v[94:95], v[82:83]
	v_fma_f64 v[32:33], v[34:35], s[8:9], v[30:31]
	v_fma_f64 v[96:97], v[34:35], s[8:9], v[14:15]
	v_fma_f64 v[16:17], v[16:17], -0.5, v[98:99]
	v_add_f64 v[30:31], v[90:91], -v[94:95]
	v_add_f64 v[34:35], v[86:87], -v[82:83]
	v_add_f64 v[14:15], v[98:99], v[90:91]
	v_fma_f64 v[22:23], v[36:37], s[18:19], v[16:17]
	v_fma_f64 v[16:17], v[36:37], s[6:7], v[16:17]
	v_add_f64 v[30:31], v[30:31], v[34:35]
	v_add_f64 v[14:15], v[14:15], v[94:95]
	v_fma_f64 v[22:23], v[45:46], s[14:15], v[22:23]
	v_fma_f64 v[16:17], v[45:46], s[16:17], v[16:17]
	v_add_f64 v[14:15], v[14:15], v[82:83]
	v_add_f64 v[82:83], v[82:83], -v[86:87]
	v_fma_f64 v[22:23], v[30:31], s[8:9], v[22:23]
	v_fma_f64 v[30:31], v[30:31], s[8:9], v[16:17]
	v_add_f64 v[16:17], v[90:91], v[86:87]
	v_add_f64 v[14:15], v[14:15], v[86:87]
	;; [unrolled: 1-line block ×3, first 2 shown]
	v_fma_f64 v[16:17], v[16:17], -0.5, v[98:99]
	v_fma_f64 v[34:35], v[45:46], s[6:7], v[16:17]
	v_fma_f64 v[16:17], v[45:46], s[18:19], v[16:17]
	v_fma_f64 v[34:35], v[36:37], s[14:15], v[34:35]
	v_fma_f64 v[16:17], v[36:37], s[16:17], v[16:17]
	v_fma_f64 v[34:35], v[80:81], s[8:9], v[34:35]
	v_fma_f64 v[98:99], v[80:81], s[8:9], v[16:17]
	v_mul_lo_u16 v16, v19, 5
	v_and_b32_e32 v16, 0xffff, v16
	v_lshl_add_u32 v51, v16, 4, v43
	v_mul_u32_u24_e32 v16, 5, v41
	ds_write_b128 v51, v[60:63]
	ds_write_b128 v51, v[64:67] offset:16
	ds_write_b128 v51, v[72:75] offset:32
	;; [unrolled: 1-line block ×4, first 2 shown]
	v_lshl_add_u32 v50, v16, 4, v43
	v_and_b32_e32 v16, 0xff, v19
	ds_write_b128 v50, v[0:3]
	ds_write_b128 v50, v[8:11] offset:16
	ds_write_b128 v50, v[24:27] offset:32
	;; [unrolled: 1-line block ×4, first 2 shown]
	v_mul_lo_u16 v16, 0xcd, v16
	v_mul_u32_u24_e32 v0, 5, v196
	v_lshrrev_b16 v116, 10, v16
	v_lshl_add_u32 v52, v0, 4, v43
	ds_write_b128 v52, v[12:15]
	ds_write_b128 v52, v[20:23] offset:16
	ds_write_b128 v52, v[32:35] offset:32
	;; [unrolled: 1-line block ×4, first 2 shown]
	v_mul_lo_u16 v16, v116, 5
	s_waitcnt lgkmcnt(0)
	s_barrier
	buffer_gl0_inv
	ds_read_b128 v[0:3], v44
	ds_read_b128 v[28:31], v44 offset:2160
	ds_read_b128 v[68:71], v44 offset:4320
	;; [unrolled: 1-line block ×14, first 2 shown]
	v_sub_nc_u16 v117, v19, v16
	v_lshlrev_b16 v16, 1, v117
	v_and_b32_e32 v16, 0xfe, v16
	v_lshlrev_b32_e32 v16, 4, v16
	s_clause 0x1
	global_load_dwordx4 v[60:63], v16, s[10:11] offset:16
	global_load_dwordx4 v[64:67], v16, s[10:11]
	s_waitcnt vmcnt(0) lgkmcnt(13)
	v_mul_f64 v[16:17], v[30:31], v[66:67]
	v_fma_f64 v[32:33], v[28:29], v[64:65], -v[16:17]
	v_mul_f64 v[16:17], v[28:29], v[66:67]
	v_fma_f64 v[122:123], v[30:31], v[64:65], v[16:17]
	s_waitcnt lgkmcnt(12)
	v_mul_f64 v[16:17], v[70:71], v[62:63]
	v_fma_f64 v[124:125], v[68:69], v[60:61], -v[16:17]
	v_mul_f64 v[16:17], v[68:69], v[62:63]
	v_fma_f64 v[126:127], v[70:71], v[60:61], v[16:17]
	v_and_b32_e32 v17, 0xff, v41
	v_mul_lo_u16 v16, 0xcd, v17
	v_mul_lo_u16 v17, 0x89, v17
	v_lshrrev_b16 v118, 10, v16
	v_lshrrev_b16 v17, 11, v17
	v_mul_lo_u16 v16, v118, 5
	v_sub_nc_u16 v119, v41, v16
	v_lshlrev_b32_sdwa v16, v164, v119 dst_sel:DWORD dst_unused:UNUSED_PAD src0_sel:DWORD src1_sel:BYTE_0
	s_clause 0x1
	global_load_dwordx4 v[68:71], v16, s[10:11] offset:16
	global_load_dwordx4 v[72:75], v16, s[10:11]
	v_and_b32_e32 v16, 0xff, v196
	v_mul_lo_u16 v38, 0xcd, v16
	v_mul_lo_u16 v16, 0x89, v16
	v_lshrrev_b16 v120, 10, v38
	v_lshrrev_b16 v16, 11, v16
	v_mul_lo_u16 v38, v120, 5
	v_sub_nc_u16 v121, v196, v38
	v_lshlrev_b32_sdwa v38, v164, v121 dst_sel:DWORD dst_unused:UNUSED_PAD src0_sel:DWORD src1_sel:BYTE_0
	s_waitcnt vmcnt(0) lgkmcnt(10)
	v_mul_f64 v[28:29], v[78:79], v[74:75]
	v_mul_f64 v[30:31], v[76:77], v[74:75]
	v_fma_f64 v[28:29], v[76:77], v[72:73], -v[28:29]
	v_fma_f64 v[128:129], v[78:79], v[72:73], v[30:31]
	s_waitcnt lgkmcnt(9)
	v_mul_f64 v[30:31], v[82:83], v[70:71]
	v_mul_f64 v[76:77], v[80:81], v[70:71]
	v_fma_f64 v[30:31], v[80:81], v[68:69], -v[30:31]
	v_fma_f64 v[130:131], v[82:83], v[68:69], v[76:77]
	s_clause 0x1
	global_load_dwordx4 v[76:79], v38, s[10:11] offset:16
	global_load_dwordx4 v[80:83], v38, s[10:11]
	s_waitcnt vmcnt(0) lgkmcnt(7)
	v_mul_f64 v[84:85], v[26:27], v[82:83]
	v_fma_f64 v[132:133], v[24:25], v[80:81], -v[84:85]
	v_mul_f64 v[24:25], v[24:25], v[82:83]
	v_fma_f64 v[134:135], v[26:27], v[80:81], v[24:25]
	s_waitcnt lgkmcnt(6)
	v_mul_f64 v[24:25], v[22:23], v[78:79]
	v_fma_f64 v[136:137], v[20:21], v[76:77], -v[24:25]
	v_mul_f64 v[20:21], v[20:21], v[78:79]
	v_add_f64 v[24:25], v[28:29], v[30:31]
	v_fma_f64 v[138:139], v[22:23], v[76:77], v[20:21]
	v_mul_lo_u16 v20, 0xcd, v165
	v_fma_f64 v[24:25], v[24:25], -0.5, v[112:113]
	v_lshrrev_b16 v20, 10, v20
	v_mul_lo_u16 v21, v20, 5
	v_sub_nc_u16 v21, v40, v21
	v_lshlrev_b32_sdwa v22, v164, v21 dst_sel:DWORD dst_unused:UNUSED_PAD src0_sel:DWORD src1_sel:BYTE_0
	s_clause 0x1
	global_load_dwordx4 v[84:87], v22, s[10:11] offset:16
	global_load_dwordx4 v[88:91], v22, s[10:11]
	s_waitcnt vmcnt(0) lgkmcnt(4)
	v_mul_f64 v[22:23], v[36:37], v[90:91]
	v_fma_f64 v[140:141], v[34:35], v[88:89], -v[22:23]
	v_mul_f64 v[22:23], v[34:35], v[90:91]
	v_add_f64 v[34:35], v[128:129], v[130:131]
	v_fma_f64 v[36:37], v[36:37], v[88:89], v[22:23]
	s_waitcnt lgkmcnt(3)
	v_mul_f64 v[22:23], v[14:15], v[86:87]
	v_fma_f64 v[34:35], v[34:35], -0.5, v[114:115]
	v_fma_f64 v[142:143], v[12:13], v[84:85], -v[22:23]
	v_mul_f64 v[12:13], v[12:13], v[86:87]
	v_fma_f64 v[14:15], v[14:15], v[84:85], v[12:13]
	v_mul_lo_u16 v12, 0xcd, v172
	v_lshrrev_b16 v12, 10, v12
	v_mul_lo_u16 v13, v12, 5
	v_sub_nc_u16 v13, v42, v13
	v_lshlrev_b32_sdwa v22, v164, v13 dst_sel:DWORD dst_unused:UNUSED_PAD src0_sel:DWORD src1_sel:BYTE_0
	s_clause 0x1
	global_load_dwordx4 v[92:95], v22, s[10:11] offset:16
	global_load_dwordx4 v[96:99], v22, s[10:11]
	s_waitcnt vmcnt(0) lgkmcnt(0)
	s_barrier
	buffer_gl0_inv
	v_mul_f64 v[22:23], v[10:11], v[98:99]
	v_fma_f64 v[144:145], v[8:9], v[96:97], -v[22:23]
	v_mul_f64 v[8:9], v[8:9], v[98:99]
	v_add_f64 v[22:23], v[32:33], -v[124:125]
	v_fma_f64 v[146:147], v[10:11], v[96:97], v[8:9]
	v_mul_f64 v[8:9], v[6:7], v[94:95]
	v_add_f64 v[10:11], v[122:123], v[126:127]
	v_fma_f64 v[148:149], v[4:5], v[92:93], -v[8:9]
	v_mul_f64 v[4:5], v[4:5], v[94:95]
	v_add_f64 v[8:9], v[122:123], -v[126:127]
	v_fma_f64 v[10:11], v[10:11], -0.5, v[2:3]
	v_fma_f64 v[150:151], v[6:7], v[92:93], v[4:5]
	v_add_f64 v[6:7], v[32:33], v[124:125]
	v_add_f64 v[4:5], v[0:1], v[32:33]
	v_add_f64 v[32:33], v[128:129], -v[130:131]
	v_fma_f64 v[6:7], v[6:7], -0.5, v[0:1]
	v_add_f64 v[4:5], v[4:5], v[124:125]
	v_fma_f64 v[26:27], v[32:33], s[2:3], v[24:25]
	v_fma_f64 v[32:33], v[32:33], s[4:5], v[24:25]
	v_add_f64 v[24:25], v[114:115], v[128:129]
	v_add_f64 v[114:115], v[134:135], -v[138:139]
	v_add_f64 v[124:125], v[132:133], -v[136:137]
	v_add_f64 v[128:129], v[36:37], -v[14:15]
	v_fma_f64 v[0:1], v[8:9], s[2:3], v[6:7]
	v_fma_f64 v[8:9], v[8:9], s[4:5], v[6:7]
	v_add_f64 v[6:7], v[2:3], v[122:123]
	v_fma_f64 v[2:3], v[22:23], s[4:5], v[10:11]
	v_fma_f64 v[10:11], v[22:23], s[2:3], v[10:11]
	v_add_f64 v[22:23], v[112:113], v[28:29]
	v_add_f64 v[24:25], v[24:25], v[130:131]
	v_add_f64 v[6:7], v[6:7], v[126:127]
	v_add_f64 v[22:23], v[22:23], v[30:31]
	v_add_f64 v[30:31], v[28:29], -v[30:31]
	v_fma_f64 v[28:29], v[30:31], s[4:5], v[34:35]
	v_fma_f64 v[34:35], v[30:31], s[2:3], v[34:35]
	v_add_f64 v[30:31], v[108:109], v[132:133]
	v_add_f64 v[112:113], v[30:31], v[136:137]
	v_add_f64 v[30:31], v[132:133], v[136:137]
	v_fma_f64 v[30:31], v[30:31], -0.5, v[108:109]
	v_fma_f64 v[108:109], v[114:115], s[2:3], v[30:31]
	v_fma_f64 v[122:123], v[114:115], s[4:5], v[30:31]
	v_add_f64 v[30:31], v[110:111], v[134:135]
	v_add_f64 v[114:115], v[30:31], v[138:139]
	v_add_f64 v[30:31], v[134:135], v[138:139]
	v_fma_f64 v[30:31], v[30:31], -0.5, v[110:111]
	;; [unrolled: 6-line block ×3, first 2 shown]
	v_fma_f64 v[104:105], v[128:129], s[2:3], v[30:31]
	v_fma_f64 v[130:131], v[128:129], s[4:5], v[30:31]
	v_add_f64 v[30:31], v[106:107], v[36:37]
	v_add_f64 v[128:129], v[30:31], v[14:15]
	;; [unrolled: 1-line block ×3, first 2 shown]
	v_add_f64 v[30:31], v[140:141], -v[142:143]
	v_fma_f64 v[14:15], v[14:15], -0.5, v[106:107]
	v_fma_f64 v[106:107], v[30:31], s[4:5], v[14:15]
	v_fma_f64 v[132:133], v[30:31], s[2:3], v[14:15]
	v_add_f64 v[14:15], v[100:101], v[144:145]
	v_add_f64 v[30:31], v[146:147], -v[150:151]
	v_add_f64 v[134:135], v[14:15], v[148:149]
	v_add_f64 v[14:15], v[144:145], v[148:149]
	v_fma_f64 v[14:15], v[14:15], -0.5, v[100:101]
	v_fma_f64 v[100:101], v[30:31], s[2:3], v[14:15]
	v_fma_f64 v[138:139], v[30:31], s[4:5], v[14:15]
	v_add_f64 v[14:15], v[102:103], v[146:147]
	v_add_f64 v[30:31], v[144:145], -v[148:149]
	v_add_f64 v[136:137], v[14:15], v[150:151]
	v_add_f64 v[14:15], v[146:147], v[150:151]
	v_fma_f64 v[14:15], v[14:15], -0.5, v[102:103]
	v_fma_f64 v[102:103], v[30:31], s[4:5], v[14:15]
	v_fma_f64 v[140:141], v[30:31], s[2:3], v[14:15]
	v_mad_u16 v14, v116, 15, v117
	v_and_b32_e32 v14, 0xff, v14
	v_lshl_add_u32 v14, v14, 4, v43
	buffer_store_dword v14, off, s[24:27], 0 offset:252 ; 4-byte Folded Spill
	ds_write_b128 v14, v[4:7]
	ds_write_b128 v14, v[0:3] offset:80
	ds_write_b128 v14, v[8:11] offset:160
	v_mul_lo_u16 v0, v118, 15
	v_add_nc_u32_sdwa v0, v0, v119 dst_sel:DWORD dst_unused:UNUSED_PAD src0_sel:BYTE_0 src1_sel:BYTE_0
	v_lshl_add_u32 v0, v0, 4, v43
	buffer_store_dword v0, off, s[24:27], 0 offset:244 ; 4-byte Folded Spill
	ds_write_b128 v0, v[22:25]
	ds_write_b128 v0, v[26:29] offset:80
	ds_write_b128 v0, v[32:35] offset:160
	v_mov_b32_e32 v0, 15
	v_add_co_u32 v32, s20, v55, -15
	v_add_co_ci_u32_e64 v33, null, 0, -1, s20
	v_mul_u32_u24_sdwa v1, v120, v0 dst_sel:DWORD dst_unused:UNUSED_PAD src0_sel:WORD_0 src1_sel:DWORD
	v_cndmask_b32_e32 v32, v32, v55, vcc_lo
	v_cndmask_b32_e64 v33, v33, 0, vcc_lo
	v_add_nc_u32_sdwa v1, v1, v121 dst_sel:DWORD dst_unused:UNUSED_PAD src0_sel:DWORD src1_sel:BYTE_0
	v_lshl_add_u32 v1, v1, 4, v43
	buffer_store_dword v1, off, s[24:27], 0 offset:240 ; 4-byte Folded Spill
	ds_write_b128 v1, v[112:115]
	ds_write_b128 v1, v[108:111] offset:80
	ds_write_b128 v1, v[122:125] offset:160
	v_mul_u32_u24_sdwa v1, v20, v0 dst_sel:DWORD dst_unused:UNUSED_PAD src0_sel:WORD_0 src1_sel:DWORD
	v_mul_u32_u24_sdwa v0, v12, v0 dst_sel:DWORD dst_unused:UNUSED_PAD src0_sel:WORD_0 src1_sel:DWORD
	v_add_nc_u32_sdwa v1, v1, v21 dst_sel:DWORD dst_unused:UNUSED_PAD src0_sel:DWORD src1_sel:BYTE_0
	v_add_nc_u32_sdwa v0, v0, v13 dst_sel:DWORD dst_unused:UNUSED_PAD src0_sel:DWORD src1_sel:BYTE_0
	v_lshl_add_u32 v1, v1, 4, v43
	v_lshl_add_u32 v0, v0, 4, v43
	buffer_store_dword v1, off, s[24:27], 0 offset:236 ; 4-byte Folded Spill
	ds_write_b128 v1, v[126:129]
	ds_write_b128 v1, v[104:107] offset:80
	ds_write_b128 v1, v[130:133] offset:160
	buffer_store_dword v0, off, s[24:27], 0 offset:232 ; 4-byte Folded Spill
	ds_write_b128 v0, v[134:137]
	ds_write_b128 v0, v[100:103] offset:80
	ds_write_b128 v0, v[138:141] offset:160
	v_lshlrev_b64 v[100:101], 5, v[32:33]
	s_waitcnt lgkmcnt(0)
	s_waitcnt_vscnt null, 0x0
	s_barrier
	buffer_gl0_inv
	ds_read_b128 v[12:15], v44
	ds_read_b128 v[108:111], v44 offset:2160
	ds_read_b128 v[112:115], v44 offset:4320
	;; [unrolled: 1-line block ×14, first 2 shown]
	v_mul_lo_u16 v33, v17, 15
	v_add_co_u32 v104, vcc_lo, s10, v100
	v_add_co_ci_u32_e32 v105, vcc_lo, s11, v101, vcc_lo
	s_clause 0x1
	global_load_dwordx4 v[100:103], v[104:105], off offset:176
	global_load_dwordx4 v[104:107], v[104:105], off offset:160
	v_sub_nc_u16 v33, v41, v33
	v_cmp_lt_u16_e32 vcc_lo, 14, v19
	v_lshlrev_b32_sdwa v38, v164, v33 dst_sel:DWORD dst_unused:UNUSED_PAD src0_sel:DWORD src1_sel:BYTE_0
	v_cndmask_b32_e64 v47, 0, 45, vcc_lo
	v_cmp_gt_u16_e32 vcc_lo, 18, v19
	v_add_nc_u32_e32 v32, v32, v47
	v_lshl_add_u32 v32, v32, 4, v43
	s_waitcnt vmcnt(0) lgkmcnt(13)
	v_mul_f64 v[137:138], v[110:111], v[106:107]
	v_fma_f64 v[140:141], v[108:109], v[104:105], -v[137:138]
	v_mul_f64 v[108:109], v[108:109], v[106:107]
	v_fma_f64 v[142:143], v[110:111], v[104:105], v[108:109]
	s_waitcnt lgkmcnt(12)
	v_mul_f64 v[108:109], v[114:115], v[102:103]
	v_fma_f64 v[148:149], v[112:113], v[100:101], -v[108:109]
	v_mul_f64 v[108:109], v[112:113], v[102:103]
	v_fma_f64 v[150:151], v[114:115], v[100:101], v[108:109]
	s_clause 0x1
	global_load_dwordx4 v[108:111], v38, s[10:11] offset:176
	global_load_dwordx4 v[112:115], v38, s[10:11] offset:160
	v_mul_lo_u16 v38, v16, 15
	v_sub_nc_u16 v128, v196, v38
	v_lshlrev_b32_sdwa v38, v164, v128 dst_sel:DWORD dst_unused:UNUSED_PAD src0_sel:DWORD src1_sel:BYTE_0
	s_waitcnt vmcnt(0) lgkmcnt(10)
	v_mul_f64 v[137:138], v[122:123], v[114:115]
	v_fma_f64 v[156:157], v[120:121], v[112:113], -v[137:138]
	v_mul_f64 v[120:121], v[120:121], v[114:115]
	v_fma_f64 v[158:159], v[122:123], v[112:113], v[120:121]
	s_waitcnt lgkmcnt(9)
	v_mul_f64 v[120:121], v[126:127], v[110:111]
	v_fma_f64 v[166:167], v[124:125], v[108:109], -v[120:121]
	v_mul_f64 v[120:121], v[124:125], v[110:111]
	v_fma_f64 v[168:169], v[126:127], v[108:109], v[120:121]
	s_clause 0x1
	global_load_dwordx4 v[120:123], v38, s[10:11] offset:176
	global_load_dwordx4 v[124:127], v38, s[10:11] offset:160
	v_mul_lo_u16 v38, 0x89, v165
	s_waitcnt vmcnt(0) lgkmcnt(7)
	v_mul_f64 v[137:138], v[131:132], v[126:127]
	v_fma_f64 v[170:171], v[129:130], v[124:125], -v[137:138]
	v_mul_f64 v[129:130], v[129:130], v[126:127]
	v_fma_f64 v[173:174], v[131:132], v[124:125], v[129:130]
	s_waitcnt lgkmcnt(6)
	v_mul_f64 v[129:130], v[135:136], v[122:123]
	v_fma_f64 v[175:176], v[133:134], v[120:121], -v[129:130]
	v_mul_f64 v[129:130], v[133:134], v[122:123]
	v_add_f64 v[132:133], v[170:171], v[175:176]
	v_fma_f64 v[134:135], v[135:136], v[120:121], v[129:130]
	v_lshrrev_b16 v129, 11, v38
	v_mul_lo_u16 v38, v129, 15
	v_sub_nc_u16 v38, v40, v38
	v_lshlrev_b32_sdwa v45, v164, v38 dst_sel:DWORD dst_unused:UNUSED_PAD src0_sel:DWORD src1_sel:BYTE_0
	s_clause 0x1
	global_load_dwordx4 v[136:139], v45, s[10:11] offset:176
	global_load_dwordx4 v[144:147], v45, s[10:11] offset:160
	v_fma_f64 v[132:133], v[132:133], -0.5, v[4:5]
	s_waitcnt vmcnt(0) lgkmcnt(4)
	v_mul_f64 v[130:131], v[30:31], v[146:147]
	v_fma_f64 v[177:178], v[28:29], v[144:145], -v[130:131]
	v_mul_f64 v[28:29], v[28:29], v[146:147]
	v_add_f64 v[130:131], v[156:157], -v[166:167]
	v_fma_f64 v[179:180], v[30:31], v[144:145], v[28:29]
	s_waitcnt lgkmcnt(3)
	v_mul_f64 v[28:29], v[26:27], v[138:139]
	v_add_f64 v[30:31], v[156:157], v[166:167]
	v_fma_f64 v[181:182], v[24:25], v[136:137], -v[28:29]
	v_mul_f64 v[24:25], v[24:25], v[138:139]
	v_add_f64 v[28:29], v[140:141], -v[148:149]
	v_fma_f64 v[30:31], v[30:31], -0.5, v[8:9]
	v_fma_f64 v[183:184], v[26:27], v[136:137], v[24:25]
	v_mul_lo_u16 v24, 0x89, v172
	v_add_f64 v[26:27], v[142:143], v[150:151]
	v_lshrrev_b16 v45, 11, v24
	v_mul_lo_u16 v24, v45, 15
	v_sub_nc_u16 v46, v42, v24
	v_lshlrev_b32_sdwa v24, v164, v46 dst_sel:DWORD dst_unused:UNUSED_PAD src0_sel:DWORD src1_sel:BYTE_0
	s_clause 0x1
	global_load_dwordx4 v[152:155], v24, s[10:11] offset:176
	global_load_dwordx4 v[160:163], v24, s[10:11] offset:160
	v_fma_f64 v[26:27], v[26:27], -0.5, v[14:15]
	s_waitcnt vmcnt(0) lgkmcnt(0)
	s_barrier
	buffer_gl0_inv
	buffer_store_dword v32, off, s[24:27], 0 offset:268 ; 4-byte Folded Spill
	v_mul_f64 v[24:25], v[22:23], v[162:163]
	v_fma_f64 v[185:186], v[20:21], v[160:161], -v[24:25]
	v_mul_f64 v[20:21], v[20:21], v[162:163]
	v_add_f64 v[24:25], v[142:143], -v[150:151]
	v_fma_f64 v[187:188], v[22:23], v[160:161], v[20:21]
	v_mul_f64 v[20:21], v[36:37], v[154:155]
	v_add_f64 v[22:23], v[140:141], v[148:149]
	v_fma_f64 v[189:190], v[34:35], v[152:153], -v[20:21]
	v_mul_f64 v[20:21], v[34:35], v[154:155]
	v_fma_f64 v[22:23], v[22:23], -0.5, v[12:13]
	v_add_f64 v[34:35], v[158:159], -v[168:169]
	v_fma_f64 v[191:192], v[36:37], v[152:153], v[20:21]
	v_add_f64 v[36:37], v[158:159], v[168:169]
	v_add_f64 v[20:21], v[12:13], v[140:141]
	v_add_f64 v[140:141], v[173:174], -v[134:135]
	v_fma_f64 v[12:13], v[24:25], s[2:3], v[22:23]
	v_fma_f64 v[24:25], v[24:25], s[4:5], v[22:23]
	v_add_f64 v[22:23], v[14:15], v[142:143]
	v_fma_f64 v[14:15], v[28:29], s[4:5], v[26:27]
	v_fma_f64 v[26:27], v[28:29], s[2:3], v[26:27]
	v_add_f64 v[28:29], v[8:9], v[156:157]
	;; [unrolled: 3-line block ×3, first 2 shown]
	v_add_f64 v[142:143], v[170:171], -v[175:176]
	v_add_f64 v[158:159], v[177:178], -v[181:182]
	v_fma_f64 v[36:37], v[36:37], -0.5, v[10:11]
	v_add_f64 v[20:21], v[20:21], v[148:149]
	v_add_f64 v[22:23], v[22:23], v[150:151]
	v_add_f64 v[150:151], v[179:180], -v[183:184]
	ds_write_b128 v32, v[20:23]
	ds_write_b128 v32, v[12:15] offset:240
	ds_write_b128 v32, v[24:27] offset:480
	v_fma_f64 v[10:11], v[130:131], s[4:5], v[36:37]
	v_fma_f64 v[36:37], v[130:131], s[2:3], v[36:37]
	v_add_f64 v[130:131], v[4:5], v[170:171]
	v_fma_f64 v[4:5], v[140:141], s[2:3], v[132:133]
	v_fma_f64 v[140:141], v[140:141], s[4:5], v[132:133]
	v_add_f64 v[132:133], v[6:7], v[173:174]
	v_add_f64 v[28:29], v[28:29], v[166:167]
	;; [unrolled: 1-line block ×3, first 2 shown]
	v_add_f64 v[168:169], v[187:188], -v[191:192]
	v_mov_b32_e32 v12, 45
	v_add_f64 v[170:171], v[185:186], -v[189:190]
	v_lshlrev_b32_e32 v22, 5, v55
	v_mul_u32_u24_sdwa v13, v17, v12 dst_sel:DWORD dst_unused:UNUSED_PAD src0_sel:WORD_0 src1_sel:DWORD
	v_add_co_u32 v23, s20, s10, v22
	v_add_co_ci_u32_e64 v24, null, s11, 0, s20
	v_add_nc_u32_sdwa v13, v13, v33 dst_sel:DWORD dst_unused:UNUSED_PAD src0_sel:DWORD src1_sel:BYTE_0
	v_add_f64 v[130:131], v[130:131], v[175:176]
	v_lshl_add_u32 v13, v13, 4, v43
	v_add_f64 v[132:133], v[132:133], v[134:135]
	v_add_f64 v[134:135], v[173:174], v[134:135]
	buffer_store_dword v13, off, s[24:27], 0 offset:264 ; 4-byte Folded Spill
	ds_write_b128 v13, v[28:31]
	ds_write_b128 v13, v[8:11] offset:240
	ds_write_b128 v13, v[34:37] offset:480
	v_mul_u32_u24_sdwa v8, v16, v12 dst_sel:DWORD dst_unused:UNUSED_PAD src0_sel:WORD_0 src1_sel:DWORD
	v_add_nc_u32_sdwa v8, v8, v128 dst_sel:DWORD dst_unused:UNUSED_PAD src0_sel:DWORD src1_sel:BYTE_0
	v_lshl_add_u32 v8, v8, 4, v43
	buffer_store_dword v8, off, s[24:27], 0 offset:260 ; 4-byte Folded Spill
	v_fma_f64 v[134:135], v[134:135], -0.5, v[6:7]
	v_fma_f64 v[6:7], v[142:143], s[4:5], v[134:135]
	v_fma_f64 v[142:143], v[142:143], s[2:3], v[134:135]
	v_add_f64 v[134:135], v[0:1], v[177:178]
	ds_write_b128 v8, v[130:133]
	ds_write_b128 v8, v[4:7] offset:240
	ds_write_b128 v8, v[140:143] offset:480
	v_mul_u32_u24_sdwa v4, v129, v12 dst_sel:DWORD dst_unused:UNUSED_PAD src0_sel:WORD_0 src1_sel:DWORD
	v_add_f64 v[148:149], v[134:135], v[181:182]
	v_add_f64 v[134:135], v[177:178], v[181:182]
	v_add_nc_u32_sdwa v4, v4, v38 dst_sel:DWORD dst_unused:UNUSED_PAD src0_sel:DWORD src1_sel:BYTE_0
	v_lshl_add_u32 v4, v4, 4, v43
	buffer_store_dword v4, off, s[24:27], 0 offset:256 ; 4-byte Folded Spill
	v_fma_f64 v[134:135], v[134:135], -0.5, v[0:1]
	v_fma_f64 v[0:1], v[150:151], s[2:3], v[134:135]
	v_fma_f64 v[156:157], v[150:151], s[4:5], v[134:135]
	v_add_f64 v[134:135], v[2:3], v[179:180]
	v_add_f64 v[150:151], v[134:135], v[183:184]
	;; [unrolled: 1-line block ×3, first 2 shown]
	v_fma_f64 v[134:135], v[134:135], -0.5, v[2:3]
	v_fma_f64 v[2:3], v[158:159], s[4:5], v[134:135]
	v_fma_f64 v[158:159], v[158:159], s[2:3], v[134:135]
	v_add_f64 v[134:135], v[116:117], v[185:186]
	ds_write_b128 v4, v[148:151]
	ds_write_b128 v4, v[0:3] offset:240
	ds_write_b128 v4, v[156:159] offset:480
	v_mul_u32_u24_sdwa v0, v45, v12 dst_sel:DWORD dst_unused:UNUSED_PAD src0_sel:WORD_0 src1_sel:DWORD
	v_add_f64 v[166:167], v[134:135], v[189:190]
	v_add_f64 v[134:135], v[185:186], v[189:190]
	v_add_nc_u32_sdwa v0, v0, v46 dst_sel:DWORD dst_unused:UNUSED_PAD src0_sel:DWORD src1_sel:BYTE_0
	v_lshl_add_u32 v0, v0, 4, v43
	buffer_store_dword v0, off, s[24:27], 0 offset:248 ; 4-byte Folded Spill
	v_fma_f64 v[134:135], v[134:135], -0.5, v[116:117]
	v_fma_f64 v[116:117], v[168:169], s[2:3], v[134:135]
	v_fma_f64 v[173:174], v[168:169], s[4:5], v[134:135]
	v_add_f64 v[134:135], v[118:119], v[187:188]
	v_add_f64 v[168:169], v[134:135], v[191:192]
	;; [unrolled: 1-line block ×3, first 2 shown]
	v_fma_f64 v[134:135], v[134:135], -0.5, v[118:119]
	v_fma_f64 v[118:119], v[170:171], s[4:5], v[134:135]
	v_fma_f64 v[175:176], v[170:171], s[2:3], v[134:135]
	ds_write_b128 v0, v[166:169]
	ds_write_b128 v0, v[116:119] offset:240
	ds_write_b128 v0, v[173:176] offset:480
	s_waitcnt lgkmcnt(0)
	s_waitcnt_vscnt null, 0x0
	s_barrier
	buffer_gl0_inv
	ds_read_b128 v[25:28], v44
	ds_read_b128 v[29:32], v44 offset:2160
	ds_read_b128 v[33:36], v44 offset:4320
	;; [unrolled: 1-line block ×14, first 2 shown]
	s_clause 0x1
	global_load_dwordx4 v[116:119], v22, s[10:11] offset:656
	global_load_dwordx4 v[128:131], v22, s[10:11] offset:640
	s_waitcnt vmcnt(0) lgkmcnt(13)
	v_mul_f64 v[16:17], v[31:32], v[130:131]
	v_fma_f64 v[20:21], v[29:30], v[128:129], -v[16:17]
	v_mul_f64 v[16:17], v[29:30], v[130:131]
	v_fma_f64 v[193:194], v[31:32], v[128:129], v[16:17]
	s_waitcnt lgkmcnt(12)
	v_mul_f64 v[16:17], v[35:36], v[118:119]
	v_fma_f64 v[197:198], v[33:34], v[116:117], -v[16:17]
	v_mul_f64 v[16:17], v[33:34], v[118:119]
	v_add_f64 v[31:32], v[20:21], v[197:198]
	v_fma_f64 v[35:36], v[35:36], v[116:117], v[16:17]
	v_add_co_u32 v16, s20, 0xffffffee, v55
	v_add_co_ci_u32_e64 v17, null, 0, -1, s20
	v_cndmask_b32_e32 v16, v16, v41, vcc_lo
	v_cndmask_b32_e32 v17, v17, v18, vcc_lo
	v_lshlrev_b64 v[17:18], 5, v[16:17]
	v_add_co_u32 v17, vcc_lo, s10, v17
	v_add_co_ci_u32_e32 v18, vcc_lo, s11, v18, vcc_lo
	s_clause 0x1
	global_load_dwordx4 v[132:135], v[17:18], off offset:656
	global_load_dwordx4 v[140:143], v[17:18], off offset:640
	v_fma_f64 v[31:32], v[31:32], -0.5, v[25:26]
	v_add_f64 v[33:34], v[193:194], -v[35:36]
	v_cmp_lt_u16_e32 vcc_lo, 17, v19
	s_waitcnt vmcnt(0) lgkmcnt(10)
	v_mul_f64 v[29:30], v[148:149], v[142:143]
	v_mul_f64 v[17:18], v[150:151], v[142:143]
	v_fma_f64 v[199:200], v[150:151], v[140:141], v[29:30]
	s_waitcnt lgkmcnt(9)
	v_mul_f64 v[29:30], v[158:159], v[134:135]
	v_fma_f64 v[17:18], v[148:149], v[140:141], -v[17:18]
	v_fma_f64 v[201:202], v[156:157], v[132:133], -v[29:30]
	v_mul_f64 v[29:30], v[156:157], v[134:135]
	v_fma_f64 v[203:204], v[158:159], v[132:133], v[29:30]
	s_clause 0x1
	global_load_dwordx4 v[148:151], v22, s[10:11] offset:944
	global_load_dwordx4 v[156:159], v22, s[10:11] offset:928
	v_mul_lo_u16 v22, 0x6d, v165
	v_lshrrev_b16 v22, 8, v22
	s_waitcnt vmcnt(0) lgkmcnt(7)
	v_mul_f64 v[29:30], v[168:169], v[158:159]
	v_fma_f64 v[205:206], v[166:167], v[156:157], -v[29:30]
	v_mul_f64 v[29:30], v[166:167], v[158:159]
	v_fma_f64 v[207:208], v[168:169], v[156:157], v[29:30]
	s_waitcnt lgkmcnt(6)
	v_mul_f64 v[29:30], v[175:176], v[150:151]
	v_fma_f64 v[209:210], v[173:174], v[148:149], -v[29:30]
	v_mul_f64 v[29:30], v[173:174], v[150:151]
	v_fma_f64 v[211:212], v[175:176], v[148:149], v[29:30]
	v_sub_nc_u16 v29, v40, v22
	v_lshrrev_b16 v29, 1, v29
	v_and_b32_e32 v29, 0x7f, v29
	v_add_nc_u16 v22, v29, v22
	v_lshrrev_b16 v22, 5, v22
	v_mul_lo_u16 v29, v22, 45
	v_sub_nc_u16 v37, v40, v29
	v_lshlrev_b32_sdwa v29, v164, v37 dst_sel:DWORD dst_unused:UNUSED_PAD src0_sel:DWORD src1_sel:BYTE_0
	s_clause 0x1
	global_load_dwordx4 v[164:167], v29, s[10:11] offset:656
	global_load_dwordx4 v[168:171], v29, s[10:11] offset:640
	s_waitcnt vmcnt(0) lgkmcnt(4)
	v_mul_f64 v[29:30], v[179:180], v[170:171]
	v_fma_f64 v[213:214], v[177:178], v[168:169], -v[29:30]
	v_mul_f64 v[29:30], v[177:178], v[170:171]
	v_fma_f64 v[215:216], v[179:180], v[168:169], v[29:30]
	s_waitcnt lgkmcnt(3)
	v_mul_f64 v[29:30], v[183:184], v[166:167]
	v_fma_f64 v[217:218], v[181:182], v[164:165], -v[29:30]
	v_mul_f64 v[29:30], v[181:182], v[166:167]
	v_fma_f64 v[219:220], v[183:184], v[164:165], v[29:30]
	v_mul_lo_u16 v29, 0x6d, v172
	v_add_f64 v[182:183], v[199:200], -v[203:204]
	v_lshrrev_b16 v29, 8, v29
	v_sub_nc_u16 v30, v42, v29
	v_lshrrev_b16 v30, 1, v30
	v_and_b32_e32 v30, 0x7f, v30
	v_add_nc_u16 v29, v30, v29
	v_lshrrev_b16 v29, 5, v29
	v_mul_lo_u16 v29, v29, 45
	v_sub_nc_u16 v29, v42, v29
	v_and_b32_e32 v38, 0xff, v29
	v_lshlrev_b32_e32 v29, 5, v38
	s_clause 0x1
	global_load_dwordx4 v[172:175], v29, s[10:11] offset:656
	global_load_dwordx4 v[176:179], v29, s[10:11] offset:640
	s_waitcnt vmcnt(0) lgkmcnt(0)
	s_barrier
	buffer_gl0_inv
	v_mul_f64 v[29:30], v[187:188], v[178:179]
	v_fma_f64 v[221:222], v[185:186], v[176:177], -v[29:30]
	v_mul_f64 v[29:30], v[185:186], v[178:179]
	v_fma_f64 v[223:224], v[187:188], v[176:177], v[29:30]
	v_mul_f64 v[29:30], v[191:192], v[174:175]
	v_fma_f64 v[225:226], v[189:190], v[172:173], -v[29:30]
	v_mul_f64 v[29:30], v[189:190], v[174:175]
	v_fma_f64 v[227:228], v[191:192], v[172:173], v[29:30]
	v_add_f64 v[29:30], v[25:26], v[20:21]
	v_fma_f64 v[25:26], v[33:34], s[2:3], v[31:32]
	v_fma_f64 v[33:34], v[33:34], s[4:5], v[31:32]
	v_add_f64 v[31:32], v[27:28], v[193:194]
	v_add_f64 v[20:21], v[20:21], -v[197:198]
	v_add_f64 v[29:30], v[29:30], v[197:198]
	v_add_f64 v[31:32], v[31:32], v[35:36]
	;; [unrolled: 1-line block ×3, first 2 shown]
	v_fma_f64 v[35:36], v[35:36], -0.5, v[27:28]
	v_fma_f64 v[27:28], v[20:21], s[4:5], v[35:36]
	v_fma_f64 v[35:36], v[20:21], s[2:3], v[35:36]
	v_add_f64 v[20:21], v[12:13], v[17:18]
	ds_write_b128 v44, v[29:32]
	ds_write_b128 v44, v[25:28] offset:720
	ds_write_b128 v44, v[33:36] offset:1440
	v_add_f64 v[180:181], v[20:21], v[201:202]
	v_add_f64 v[20:21], v[17:18], v[201:202]
	v_add_f64 v[17:18], v[17:18], -v[201:202]
	v_fma_f64 v[20:21], v[20:21], -0.5, v[12:13]
	v_fma_f64 v[12:13], v[182:183], s[2:3], v[20:21]
	v_fma_f64 v[184:185], v[182:183], s[4:5], v[20:21]
	v_add_f64 v[20:21], v[14:15], v[199:200]
	v_add_f64 v[182:183], v[20:21], v[203:204]
	;; [unrolled: 1-line block ×3, first 2 shown]
	v_fma_f64 v[20:21], v[20:21], -0.5, v[14:15]
	v_fma_f64 v[14:15], v[17:18], s[4:5], v[20:21]
	v_fma_f64 v[186:187], v[17:18], s[2:3], v[20:21]
	v_add_f64 v[17:18], v[8:9], v[205:206]
	v_add_f64 v[20:21], v[207:208], -v[211:212]
	v_add_f64 v[188:189], v[17:18], v[209:210]
	v_add_f64 v[17:18], v[205:206], v[209:210]
	v_fma_f64 v[17:18], v[17:18], -0.5, v[8:9]
	v_fma_f64 v[8:9], v[20:21], s[2:3], v[17:18]
	v_fma_f64 v[192:193], v[20:21], s[4:5], v[17:18]
	v_add_f64 v[17:18], v[10:11], v[207:208]
	v_add_f64 v[20:21], v[205:206], -v[209:210]
	v_add_f64 v[190:191], v[17:18], v[211:212]
	v_add_f64 v[17:18], v[207:208], v[211:212]
	;; [unrolled: 7-line block ×6, first 2 shown]
	v_fma_f64 v[17:18], v[17:18], -0.5, v[2:3]
	v_fma_f64 v[2:3], v[20:21], s[4:5], v[17:18]
	v_fma_f64 v[211:212], v[20:21], s[2:3], v[17:18]
	v_cndmask_b32_e64 v17, 0, 0x87, vcc_lo
	v_lshlrev_b32_e32 v18, 5, v41
	v_add_nc_u32_e32 v16, v16, v17
	v_add_co_u32 v18, s20, s10, v18
	v_lshl_add_u32 v16, v16, 4, v43
	buffer_store_dword v16, off, s[24:27], 0 offset:280 ; 4-byte Folded Spill
	ds_write_b128 v16, v[180:183]
	ds_write_b128 v16, v[12:15] offset:720
	ds_write_b128 v16, v[184:187] offset:1440
	;; [unrolled: 1-line block ×5, first 2 shown]
	v_mov_b32_e32 v8, 0x87
	v_add_co_u32 v16, vcc_lo, 0x820, v23
	v_add_co_ci_u32_e32 v17, vcc_lo, 0, v24, vcc_lo
	v_mul_u32_u24_sdwa v8, v22, v8 dst_sel:DWORD dst_unused:UNUSED_PAD src0_sel:WORD_0 src1_sel:DWORD
	v_add_co_u32 v23, vcc_lo, 0x800, v23
	v_add_co_ci_u32_e32 v24, vcc_lo, 0, v24, vcc_lo
	v_add_nc_u32_sdwa v8, v8, v37 dst_sel:DWORD dst_unused:UNUSED_PAD src0_sel:DWORD src1_sel:BYTE_0
	v_lshl_add_u32 v8, v8, 4, v43
	buffer_store_dword v8, off, s[24:27], 0 offset:276 ; 4-byte Folded Spill
	ds_write_b128 v8, v[197:200]
	ds_write_b128 v8, v[4:7] offset:720
	ds_write_b128 v8, v[201:204] offset:1440
	v_lshl_add_u32 v4, v38, 4, v43
	buffer_store_dword v4, off, s[24:27], 0 offset:272 ; 4-byte Folded Spill
	ds_write_b128 v4, v[205:208] offset:4320
	ds_write_b128 v4, v[0:3] offset:5040
	ds_write_b128 v4, v[209:212] offset:5760
	s_waitcnt lgkmcnt(0)
	s_waitcnt_vscnt null, 0x0
	s_barrier
	buffer_gl0_inv
	ds_read_b128 v[19:22], v44
	ds_read_b128 v[25:28], v44 offset:2160
	ds_read_b128 v[29:32], v44 offset:4320
	;; [unrolled: 1-line block ×14, first 2 shown]
	s_clause 0x1
	global_load_dwordx4 v[184:187], v[23:24], off offset:32
	global_load_dwordx4 v[180:183], v[16:17], off offset:16
	s_waitcnt vmcnt(1) lgkmcnt(13)
	v_mul_f64 v[23:24], v[25:26], v[186:187]
	v_mul_f64 v[16:17], v[27:28], v[186:187]
	v_fma_f64 v[228:229], v[27:28], v[184:185], v[23:24]
	s_waitcnt vmcnt(0) lgkmcnt(12)
	v_mul_f64 v[23:24], v[31:32], v[182:183]
	v_fma_f64 v[16:17], v[25:26], v[184:185], -v[16:17]
	v_add_co_ci_u32_e64 v26, null, s11, 0, s20
	v_fma_f64 v[230:231], v[29:30], v[180:181], -v[23:24]
	v_mul_f64 v[23:24], v[29:30], v[182:183]
	v_fma_f64 v[29:30], v[31:32], v[180:181], v[23:24]
	v_add_co_u32 v23, vcc_lo, 0x820, v18
	v_add_co_ci_u32_e32 v24, vcc_lo, 0, v26, vcc_lo
	v_add_co_u32 v25, vcc_lo, 0x800, v18
	v_add_co_ci_u32_e32 v26, vcc_lo, 0, v26, vcc_lo
	s_clause 0x1
	global_load_dwordx4 v[192:195], v[25:26], off offset:32
	global_load_dwordx4 v[188:191], v[23:24], off offset:16
	v_lshlrev_b32_e32 v18, 5, v196
	v_add_co_u32 v18, s20, s10, v18
	v_add_co_ci_u32_e64 v26, null, s11, 0, s20
	v_add_f64 v[31:32], v[228:229], -v[29:30]
	s_waitcnt vmcnt(1) lgkmcnt(10)
	v_mul_f64 v[23:24], v[35:36], v[194:195]
	v_fma_f64 v[232:233], v[33:34], v[192:193], -v[23:24]
	v_mul_f64 v[23:24], v[33:34], v[194:195]
	v_fma_f64 v[35:36], v[35:36], v[192:193], v[23:24]
	s_waitcnt vmcnt(0) lgkmcnt(9)
	v_mul_f64 v[23:24], v[199:200], v[190:191]
	v_fma_f64 v[234:235], v[197:198], v[188:189], -v[23:24]
	v_mul_f64 v[23:24], v[197:198], v[190:191]
	v_fma_f64 v[236:237], v[199:200], v[188:189], v[23:24]
	v_add_co_u32 v23, vcc_lo, 0x820, v18
	v_add_co_ci_u32_e32 v24, vcc_lo, 0, v26, vcc_lo
	v_add_co_u32 v25, vcc_lo, 0x800, v18
	v_add_co_ci_u32_e32 v26, vcc_lo, 0, v26, vcc_lo
	s_clause 0x1
	global_load_dwordx4 v[200:203], v[25:26], off offset:32
	global_load_dwordx4 v[196:199], v[23:24], off offset:16
	v_lshlrev_b32_e32 v18, 5, v40
	v_add_co_u32 v18, s20, s10, v18
	v_add_co_ci_u32_e64 v26, null, s11, 0, s20
	v_add_f64 v[33:34], v[35:36], -v[236:237]
	s_waitcnt vmcnt(1) lgkmcnt(7)
	v_mul_f64 v[23:24], v[206:207], v[202:203]
	v_fma_f64 v[238:239], v[204:205], v[200:201], -v[23:24]
	v_mul_f64 v[23:24], v[204:205], v[202:203]
	v_fma_f64 v[240:241], v[206:207], v[200:201], v[23:24]
	s_waitcnt vmcnt(0) lgkmcnt(6)
	v_mul_f64 v[23:24], v[210:211], v[198:199]
	v_fma_f64 v[242:243], v[208:209], v[196:197], -v[23:24]
	v_mul_f64 v[23:24], v[208:209], v[198:199]
	v_fma_f64 v[244:245], v[210:211], v[196:197], v[23:24]
	v_add_co_u32 v23, vcc_lo, 0x820, v18
	v_add_co_ci_u32_e32 v24, vcc_lo, 0, v26, vcc_lo
	v_add_co_u32 v25, vcc_lo, 0x800, v18
	v_add_co_ci_u32_e32 v26, vcc_lo, 0, v26, vcc_lo
	s_clause 0x1
	global_load_dwordx4 v[208:211], v[25:26], off offset:32
	global_load_dwordx4 v[204:207], v[23:24], off offset:16
	v_lshlrev_b32_e32 v18, 5, v42
	v_add_co_u32 v18, s10, s10, v18
	v_add_co_ci_u32_e64 v26, null, s11, 0, s10
	s_waitcnt vmcnt(1) lgkmcnt(4)
	v_mul_f64 v[23:24], v[214:215], v[210:211]
	v_fma_f64 v[246:247], v[212:213], v[208:209], -v[23:24]
	v_mul_f64 v[23:24], v[212:213], v[210:211]
	v_fma_f64 v[248:249], v[214:215], v[208:209], v[23:24]
	s_waitcnt vmcnt(0) lgkmcnt(3)
	v_mul_f64 v[23:24], v[218:219], v[206:207]
	v_fma_f64 v[250:251], v[216:217], v[204:205], -v[23:24]
	v_mul_f64 v[23:24], v[216:217], v[206:207]
	v_fma_f64 v[252:253], v[218:219], v[204:205], v[23:24]
	v_add_co_u32 v23, vcc_lo, 0x820, v18
	v_add_co_ci_u32_e32 v24, vcc_lo, 0, v26, vcc_lo
	v_add_co_u32 v25, vcc_lo, 0x800, v18
	v_add_co_ci_u32_e32 v26, vcc_lo, 0, v26, vcc_lo
	s_clause 0x1
	global_load_dwordx4 v[216:219], v[25:26], off offset:32
	global_load_dwordx4 v[212:215], v[23:24], off offset:16
	s_waitcnt vmcnt(1) lgkmcnt(1)
	v_mul_f64 v[23:24], v[222:223], v[218:219]
	s_waitcnt vmcnt(0) lgkmcnt(0)
	v_mul_f64 v[27:28], v[224:225], v[214:215]
	v_mul_f64 v[25:26], v[226:227], v[214:215]
	v_fma_f64 v[254:255], v[220:221], v[216:217], -v[23:24]
	v_mul_f64 v[23:24], v[220:221], v[218:219]
	v_fma_f64 v[25:26], v[224:225], v[212:213], -v[25:26]
	v_fma_f64 v[37:38], v[222:223], v[216:217], v[23:24]
	v_fma_f64 v[23:24], v[226:227], v[212:213], v[27:28]
	v_add_f64 v[27:28], v[19:20], v[16:17]
	v_add_f64 v[45:46], v[27:28], v[230:231]
	;; [unrolled: 1-line block ×3, first 2 shown]
	v_add_f64 v[16:17], v[16:17], -v[230:231]
	v_fma_f64 v[27:28], v[27:28], -0.5, v[19:20]
	v_fma_f64 v[19:20], v[31:32], s[2:3], v[27:28]
	v_fma_f64 v[27:28], v[31:32], s[4:5], v[27:28]
	v_add_f64 v[31:32], v[21:22], v[228:229]
	v_add_f64 v[47:48], v[31:32], v[29:30]
	v_add_f64 v[29:30], v[228:229], v[29:30]
	v_fma_f64 v[29:30], v[29:30], -0.5, v[21:22]
	v_fma_f64 v[21:22], v[16:17], s[4:5], v[29:30]
	v_fma_f64 v[29:30], v[16:17], s[2:3], v[29:30]
	v_add_f64 v[16:17], v[12:13], v[232:233]
	v_add_f64 v[31:32], v[16:17], v[234:235]
	v_add_f64 v[16:17], v[232:233], v[234:235]
	;; [unrolled: 6-line block ×3, first 2 shown]
	v_add_f64 v[35:36], v[232:233], -v[234:235]
	v_fma_f64 v[16:17], v[16:17], -0.5, v[14:15]
	v_fma_f64 v[14:15], v[35:36], s[4:5], v[16:17]
	v_fma_f64 v[42:43], v[35:36], s[2:3], v[16:17]
	v_add_f64 v[16:17], v[8:9], v[238:239]
	v_add_f64 v[35:36], v[240:241], -v[244:245]
	v_add_f64 v[220:221], v[16:17], v[242:243]
	v_add_f64 v[16:17], v[238:239], v[242:243]
	v_fma_f64 v[16:17], v[16:17], -0.5, v[8:9]
	v_fma_f64 v[8:9], v[35:36], s[2:3], v[16:17]
	v_fma_f64 v[224:225], v[35:36], s[4:5], v[16:17]
	v_add_f64 v[16:17], v[10:11], v[240:241]
	v_add_f64 v[35:36], v[238:239], -v[242:243]
	v_add_f64 v[222:223], v[16:17], v[244:245]
	v_add_f64 v[16:17], v[240:241], v[244:245]
	;; [unrolled: 7-line block ×5, first 2 shown]
	v_fma_f64 v[16:17], v[16:17], -0.5, v[0:1]
	v_fma_f64 v[0:1], v[35:36], s[2:3], v[16:17]
	v_fma_f64 v[240:241], v[35:36], s[4:5], v[16:17]
	v_add_f64 v[16:17], v[2:3], v[37:38]
	v_add_f64 v[238:239], v[16:17], v[23:24]
	;; [unrolled: 1-line block ×3, first 2 shown]
	v_add_f64 v[23:24], v[254:255], -v[25:26]
	v_fma_f64 v[16:17], v[16:17], -0.5, v[2:3]
	v_fma_f64 v[2:3], v[23:24], s[4:5], v[16:17]
	v_fma_f64 v[242:243], v[23:24], s[2:3], v[16:17]
	v_add_co_u32 v16, vcc_lo, 0x1950, v49
	v_add_co_ci_u32_e32 v17, vcc_lo, 0, v39, vcc_lo
	ds_write_b128 v44, v[45:48]
	ds_write_b128 v44, v[19:22] offset:2160
	ds_write_b128 v44, v[27:30] offset:4320
	;; [unrolled: 1-line block ×14, first 2 shown]
	v_add_co_u32 v4, vcc_lo, 0x1800, v49
	v_add_co_ci_u32_e32 v5, vcc_lo, 0, v39, vcc_lo
	s_waitcnt lgkmcnt(0)
	s_barrier
	buffer_gl0_inv
	global_load_dwordx4 v[4:7], v[4:5], off offset:336
	ds_read_b128 v[0:3], v44
	s_waitcnt vmcnt(0) lgkmcnt(0)
	v_mul_f64 v[8:9], v[2:3], v[6:7]
	v_fma_f64 v[8:9], v[0:1], v[4:5], -v[8:9]
	v_mul_f64 v[0:1], v[0:1], v[6:7]
	v_fma_f64 v[10:11], v[2:3], v[4:5], v[0:1]
	global_load_dwordx4 v[4:7], v[16:17], off offset:1296
	ds_read_b128 v[0:3], v44 offset:1296
	ds_write_b128 v44, v[8:11]
	s_waitcnt vmcnt(0) lgkmcnt(1)
	v_mul_f64 v[8:9], v[2:3], v[6:7]
	v_fma_f64 v[8:9], v[0:1], v[4:5], -v[8:9]
	v_mul_f64 v[0:1], v[0:1], v[6:7]
	v_fma_f64 v[10:11], v[2:3], v[4:5], v[0:1]
	v_add_co_u32 v2, vcc_lo, 0x2000, v49
	v_add_co_ci_u32_e32 v3, vcc_lo, 0, v39, vcc_lo
	ds_read_b128 v[4:7], v44 offset:2592
	ds_write_b128 v44, v[8:11] offset:1296
	global_load_dwordx4 v[8:11], v[2:3], off offset:880
	s_waitcnt vmcnt(0) lgkmcnt(1)
	v_mul_f64 v[0:1], v[6:7], v[10:11]
	v_fma_f64 v[12:13], v[4:5], v[8:9], -v[0:1]
	v_mul_f64 v[0:1], v[4:5], v[10:11]
	v_fma_f64 v[14:15], v[6:7], v[8:9], v[0:1]
	v_add_co_u32 v0, vcc_lo, 0x2800, v49
	v_add_co_ci_u32_e32 v1, vcc_lo, 0, v39, vcc_lo
	ds_read_b128 v[4:7], v44 offset:3888
	global_load_dwordx4 v[8:11], v[0:1], off offset:128
	ds_write_b128 v44, v[12:15] offset:2592
	s_waitcnt vmcnt(0) lgkmcnt(1)
	v_mul_f64 v[12:13], v[6:7], v[10:11]
	v_fma_f64 v[12:13], v[4:5], v[8:9], -v[12:13]
	v_mul_f64 v[4:5], v[4:5], v[10:11]
	v_fma_f64 v[14:15], v[6:7], v[8:9], v[4:5]
	global_load_dwordx4 v[8:11], v[0:1], off offset:1424
	ds_read_b128 v[4:7], v44 offset:5184
	ds_write_b128 v44, v[12:15] offset:3888
	s_waitcnt vmcnt(0) lgkmcnt(1)
	v_mul_f64 v[12:13], v[6:7], v[10:11]
	v_fma_f64 v[12:13], v[4:5], v[8:9], -v[12:13]
	v_mul_f64 v[4:5], v[4:5], v[10:11]
	v_fma_f64 v[14:15], v[6:7], v[8:9], v[4:5]
	global_load_dwordx4 v[8:11], v[16:17], off offset:432
	ds_read_b128 v[4:7], v44 offset:432
	;; [unrolled: 8-line block ×9, first 2 shown]
	ds_write_b128 v44, v[12:15] offset:2160
	s_waitcnt vmcnt(0) lgkmcnt(1)
	v_mul_f64 v[2:3], v[6:7], v[10:11]
	v_fma_f64 v[2:3], v[4:5], v[8:9], -v[2:3]
	v_mul_f64 v[4:5], v[4:5], v[10:11]
	v_fma_f64 v[4:5], v[6:7], v[8:9], v[4:5]
	global_load_dwordx4 v[6:9], v[0:1], off offset:992
	ds_write_b128 v44, v[2:5] offset:3456
	ds_read_b128 v[2:5], v44 offset:4752
	s_waitcnt vmcnt(0) lgkmcnt(0)
	v_mul_f64 v[0:1], v[4:5], v[8:9]
	v_fma_f64 v[0:1], v[2:3], v[6:7], -v[0:1]
	v_mul_f64 v[2:3], v[2:3], v[8:9]
	v_fma_f64 v[2:3], v[4:5], v[6:7], v[2:3]
	v_add_co_u32 v4, vcc_lo, 0x3000, v49
	v_add_co_ci_u32_e32 v5, vcc_lo, 0, v39, vcc_lo
	global_load_dwordx4 v[4:7], v[4:5], off offset:240
	ds_write_b128 v44, v[0:3] offset:4752
	ds_read_b128 v[0:3], v44 offset:6048
	s_waitcnt vmcnt(0) lgkmcnt(0)
	v_mul_f64 v[8:9], v[2:3], v[6:7]
	v_fma_f64 v[8:9], v[0:1], v[4:5], -v[8:9]
	v_mul_f64 v[0:1], v[0:1], v[6:7]
	v_fma_f64 v[10:11], v[2:3], v[4:5], v[0:1]
	ds_write_b128 v44, v[8:11] offset:6048
	s_waitcnt lgkmcnt(0)
	s_barrier
	buffer_gl0_inv
	ds_read_b128 v[28:31], v44
	ds_read_b128 v[32:35], v44 offset:1296
	ds_read_b128 v[36:39], v44 offset:2592
	;; [unrolled: 1-line block ×14, first 2 shown]
	s_waitcnt lgkmcnt(0)
	s_barrier
	buffer_gl0_inv
	v_add_f64 v[45:46], v[28:29], v[32:33]
	v_add_f64 v[228:229], v[32:33], -v[36:37]
	v_add_f64 v[230:231], v[38:39], -v[42:43]
	;; [unrolled: 1-line block ×4, first 2 shown]
	v_add_f64 v[45:46], v[45:46], v[36:37]
	v_add_f64 v[228:229], v[228:229], v[234:235]
	v_add_f64 v[234:235], v[40:41], -v[0:1]
	v_add_f64 v[45:46], v[45:46], v[40:41]
	v_add_f64 v[232:233], v[45:46], v[0:1]
	v_add_f64 v[45:46], v[36:37], v[40:41]
	v_fma_f64 v[45:46], v[45:46], -0.5, v[28:29]
	v_fma_f64 v[53:54], v[47:48], s[18:19], v[45:46]
	v_fma_f64 v[45:46], v[47:48], s[6:7], v[45:46]
	;; [unrolled: 1-line block ×6, first 2 shown]
	v_add_f64 v[45:46], v[32:33], v[0:1]
	v_add_f64 v[53:54], v[36:37], -v[32:33]
	v_add_f64 v[0:1], v[32:33], -v[0:1]
	v_add_f64 v[36:37], v[36:37], -v[40:41]
	v_add_f64 v[40:41], v[34:35], -v[38:39]
	v_fma_f64 v[28:29], v[45:46], -0.5, v[28:29]
	v_add_f64 v[53:54], v[53:54], v[234:235]
	v_fma_f64 v[45:46], v[230:231], s[6:7], v[28:29]
	v_fma_f64 v[28:29], v[230:231], s[18:19], v[28:29]
	;; [unrolled: 1-line block ×4, first 2 shown]
	v_add_f64 v[47:48], v[222:223], -v[226:227]
	v_fma_f64 v[244:245], v[53:54], s[8:9], v[45:46]
	v_fma_f64 v[240:241], v[53:54], s[8:9], v[28:29]
	v_add_f64 v[28:29], v[30:31], v[34:35]
	v_add_f64 v[45:46], v[2:3], -v[42:43]
	v_add_f64 v[28:29], v[28:29], v[38:39]
	v_add_f64 v[40:41], v[40:41], v[45:46]
	v_add_f64 v[45:46], v[226:227], -v[222:223]
	v_add_f64 v[28:29], v[28:29], v[42:43]
	v_add_f64 v[234:235], v[28:29], v[2:3]
	;; [unrolled: 1-line block ×3, first 2 shown]
	v_fma_f64 v[28:29], v[28:29], -0.5, v[30:31]
	v_fma_f64 v[32:33], v[0:1], s[6:7], v[28:29]
	v_fma_f64 v[28:29], v[0:1], s[18:19], v[28:29]
	;; [unrolled: 1-line block ×6, first 2 shown]
	v_add_f64 v[28:29], v[34:35], v[2:3]
	v_add_f64 v[32:33], v[38:39], -v[34:35]
	v_add_f64 v[2:3], v[42:43], -v[2:3]
	;; [unrolled: 1-line block ×3, first 2 shown]
	v_fma_f64 v[28:29], v[28:29], -0.5, v[30:31]
	v_add_f64 v[2:3], v[32:33], v[2:3]
	v_add_f64 v[32:33], v[8:9], -v[4:5]
	v_fma_f64 v[30:31], v[36:37], s[18:19], v[28:29]
	v_fma_f64 v[28:29], v[36:37], s[6:7], v[28:29]
	v_add_f64 v[34:35], v[32:33], v[34:35]
	v_fma_f64 v[30:31], v[0:1], s[16:17], v[30:31]
	v_fma_f64 v[0:1], v[0:1], s[14:15], v[28:29]
	;; [unrolled: 1-line block ×4, first 2 shown]
	v_add_f64 v[0:1], v[20:21], v[8:9]
	v_add_f64 v[2:3], v[10:11], -v[14:15]
	v_add_f64 v[30:31], v[6:7], -v[18:19]
	v_add_f64 v[0:1], v[0:1], v[4:5]
	v_add_f64 v[0:1], v[0:1], v[16:17]
	;; [unrolled: 1-line block ×4, first 2 shown]
	v_fma_f64 v[0:1], v[0:1], -0.5, v[20:21]
	v_fma_f64 v[28:29], v[2:3], s[18:19], v[0:1]
	v_fma_f64 v[0:1], v[2:3], s[6:7], v[0:1]
	;; [unrolled: 1-line block ×6, first 2 shown]
	v_add_f64 v[0:1], v[8:9], v[12:13]
	v_add_f64 v[28:29], v[4:5], -v[8:9]
	v_add_f64 v[34:35], v[16:17], -v[12:13]
	;; [unrolled: 1-line block ×4, first 2 shown]
	v_fma_f64 v[0:1], v[0:1], -0.5, v[20:21]
	v_add_f64 v[28:29], v[28:29], v[34:35]
	v_fma_f64 v[20:21], v[30:31], s[6:7], v[0:1]
	v_fma_f64 v[0:1], v[30:31], s[18:19], v[0:1]
	;; [unrolled: 1-line block ×4, first 2 shown]
	v_add_f64 v[2:3], v[8:9], -v[12:13]
	v_add_f64 v[12:13], v[10:11], -v[6:7]
	v_fma_f64 v[20:21], v[28:29], s[8:9], v[20:21]
	v_fma_f64 v[28:29], v[28:29], s[8:9], v[0:1]
	v_add_f64 v[0:1], v[22:23], v[10:11]
	v_add_f64 v[12:13], v[12:13], v[16:17]
	v_add_f64 v[16:17], v[220:221], -v[224:225]
	v_add_f64 v[0:1], v[0:1], v[6:7]
	v_add_f64 v[0:1], v[0:1], v[18:19]
	;; [unrolled: 1-line block ×4, first 2 shown]
	v_add_f64 v[6:7], v[6:7], -v[10:11]
	v_fma_f64 v[0:1], v[0:1], -0.5, v[22:23]
	v_fma_f64 v[8:9], v[2:3], s[6:7], v[0:1]
	v_fma_f64 v[0:1], v[2:3], s[18:19], v[0:1]
	;; [unrolled: 1-line block ×6, first 2 shown]
	v_add_f64 v[0:1], v[10:11], v[14:15]
	v_add_f64 v[10:11], v[18:19], -v[14:15]
	v_add_f64 v[12:13], v[224:225], -v[220:221]
	;; [unrolled: 1-line block ×4, first 2 shown]
	v_fma_f64 v[0:1], v[0:1], -0.5, v[22:23]
	v_add_f64 v[6:7], v[6:7], v[10:11]
	v_add_f64 v[10:11], v[254:255], -v[222:223]
	v_add_f64 v[14:15], v[14:15], v[16:17]
	v_add_f64 v[16:17], v[252:253], -v[220:221]
	;; [unrolled: 2-line block ×3, first 2 shown]
	v_fma_f64 v[8:9], v[4:5], s[18:19], v[0:1]
	v_fma_f64 v[0:1], v[4:5], s[6:7], v[0:1]
	v_add_f64 v[45:46], v[45:46], v[47:48]
	v_fma_f64 v[8:9], v[2:3], s[16:17], v[8:9]
	v_fma_f64 v[0:1], v[2:3], s[14:15], v[0:1]
	v_add_f64 v[2:3], v[250:251], -v[226:227]
	v_fma_f64 v[22:23], v[6:7], s[8:9], v[8:9]
	v_fma_f64 v[30:31], v[6:7], s[8:9], v[0:1]
	v_add_f64 v[0:1], v[24:25], v[248:249]
	v_add_f64 v[8:9], v[248:249], -v[252:253]
	v_add_f64 v[0:1], v[0:1], v[252:253]
	v_add_f64 v[12:13], v[8:9], v[12:13]
	;; [unrolled: 1-line block ×5, first 2 shown]
	v_fma_f64 v[0:1], v[0:1], -0.5, v[24:25]
	v_fma_f64 v[6:7], v[2:3], s[18:19], v[0:1]
	v_fma_f64 v[0:1], v[2:3], s[6:7], v[0:1]
	v_fma_f64 v[6:7], v[10:11], s[14:15], v[6:7]
	v_fma_f64 v[0:1], v[10:11], s[16:17], v[0:1]
	v_fma_f64 v[8:9], v[12:13], s[8:9], v[6:7]
	v_add_f64 v[6:7], v[248:249], v[224:225]
	v_fma_f64 v[0:1], v[12:13], s[8:9], v[0:1]
	v_fma_f64 v[6:7], v[6:7], -0.5, v[24:25]
	v_fma_f64 v[12:13], v[10:11], s[6:7], v[6:7]
	v_fma_f64 v[6:7], v[10:11], s[18:19], v[6:7]
	;; [unrolled: 1-line block ×6, first 2 shown]
	v_add_f64 v[2:3], v[26:27], v[250:251]
	v_add_f64 v[14:15], v[248:249], -v[224:225]
	v_add_f64 v[2:3], v[2:3], v[254:255]
	v_add_f64 v[2:3], v[2:3], v[222:223]
	;; [unrolled: 1-line block ×4, first 2 shown]
	v_fma_f64 v[2:3], v[2:3], -0.5, v[26:27]
	v_fma_f64 v[10:11], v[14:15], s[6:7], v[2:3]
	v_fma_f64 v[2:3], v[14:15], s[18:19], v[2:3]
	;; [unrolled: 1-line block ×6, first 2 shown]
	v_add_f64 v[18:19], v[250:251], v[226:227]
	v_fma_f64 v[18:19], v[18:19], -0.5, v[26:27]
	v_fma_f64 v[26:27], v[16:17], s[18:19], v[18:19]
	v_fma_f64 v[16:17], v[16:17], s[6:7], v[18:19]
	;; [unrolled: 1-line block ×6, first 2 shown]
	ds_write_b128 v51, v[232:235]
	ds_write_b128 v51, v[236:239] offset:16
	ds_write_b128 v51, v[244:247] offset:32
	ds_write_b128 v51, v[240:243] offset:48
	ds_write_b128 v51, v[228:231] offset:64
	ds_write_b128 v50, v[36:39]
	ds_write_b128 v50, v[32:35] offset:16
	ds_write_b128 v50, v[20:23] offset:32
	ds_write_b128 v50, v[28:31] offset:48
	ds_write_b128 v50, v[40:43] offset:64
	;; [unrolled: 5-line block ×3, first 2 shown]
	s_waitcnt lgkmcnt(0)
	s_barrier
	buffer_gl0_inv
	ds_read_b128 v[0:3], v44
	ds_read_b128 v[4:7], v44 offset:2160
	ds_read_b128 v[8:11], v44 offset:4320
	;; [unrolled: 1-line block ×14, first 2 shown]
	s_waitcnt lgkmcnt(0)
	s_barrier
	buffer_gl0_inv
	v_mul_f64 v[45:46], v[66:67], v[6:7]
	v_fma_f64 v[45:46], v[64:65], v[4:5], v[45:46]
	v_mul_f64 v[4:5], v[66:67], v[4:5]
	v_fma_f64 v[47:48], v[64:65], v[6:7], -v[4:5]
	v_mul_f64 v[4:5], v[62:63], v[10:11]
	v_fma_f64 v[49:50], v[60:61], v[8:9], v[4:5]
	v_mul_f64 v[4:5], v[62:63], v[8:9]
	v_add_f64 v[6:7], v[45:46], v[49:50]
	v_fma_f64 v[10:11], v[60:61], v[10:11], -v[4:5]
	v_mul_f64 v[4:5], v[74:75], v[18:19]
	v_fma_f64 v[6:7], v[6:7], -0.5, v[0:1]
	v_add_f64 v[8:9], v[47:48], -v[10:11]
	v_fma_f64 v[51:52], v[72:73], v[16:17], v[4:5]
	v_mul_f64 v[4:5], v[74:75], v[16:17]
	v_add_f64 v[16:17], v[45:46], -v[49:50]
	v_fma_f64 v[53:54], v[72:73], v[18:19], -v[4:5]
	v_mul_f64 v[4:5], v[70:71], v[22:23]
	v_fma_f64 v[60:61], v[68:69], v[20:21], v[4:5]
	v_mul_f64 v[4:5], v[70:71], v[20:21]
	v_add_f64 v[18:19], v[51:52], v[60:61]
	v_fma_f64 v[22:23], v[68:69], v[22:23], -v[4:5]
	v_mul_f64 v[4:5], v[82:83], v[30:31]
	v_fma_f64 v[18:19], v[18:19], -0.5, v[12:13]
	v_add_f64 v[20:21], v[53:54], -v[22:23]
	v_fma_f64 v[62:63], v[80:81], v[28:29], v[4:5]
	v_mul_f64 v[4:5], v[82:83], v[28:29]
	v_add_f64 v[28:29], v[51:52], -v[60:61]
	v_fma_f64 v[64:65], v[80:81], v[30:31], -v[4:5]
	v_mul_f64 v[4:5], v[78:79], v[34:35]
	v_fma_f64 v[66:67], v[76:77], v[32:33], v[4:5]
	v_mul_f64 v[4:5], v[78:79], v[32:33]
	v_add_f64 v[30:31], v[62:63], v[66:67]
	v_fma_f64 v[34:35], v[76:77], v[34:35], -v[4:5]
	v_mul_f64 v[4:5], v[90:91], v[42:43]
	v_fma_f64 v[30:31], v[30:31], -0.5, v[24:25]
	v_add_f64 v[32:33], v[64:65], -v[34:35]
	v_fma_f64 v[68:69], v[88:89], v[40:41], v[4:5]
	v_mul_f64 v[4:5], v[90:91], v[40:41]
	v_add_f64 v[40:41], v[62:63], -v[66:67]
	v_fma_f64 v[70:71], v[88:89], v[42:43], -v[4:5]
	v_mul_f64 v[4:5], v[86:87], v[222:223]
	v_fma_f64 v[72:73], v[84:85], v[220:221], v[4:5]
	v_mul_f64 v[4:5], v[86:87], v[220:221]
	v_add_f64 v[42:43], v[68:69], v[72:73]
	v_fma_f64 v[74:75], v[84:85], v[222:223], -v[4:5]
	v_mul_f64 v[4:5], v[98:99], v[230:231]
	v_fma_f64 v[42:43], v[42:43], -0.5, v[36:37]
	v_fma_f64 v[76:77], v[96:97], v[228:229], v[4:5]
	v_mul_f64 v[4:5], v[98:99], v[228:229]
	v_fma_f64 v[78:79], v[96:97], v[230:231], -v[4:5]
	v_mul_f64 v[4:5], v[94:95], v[234:235]
	v_fma_f64 v[80:81], v[92:93], v[232:233], v[4:5]
	v_mul_f64 v[4:5], v[94:95], v[232:233]
	v_fma_f64 v[82:83], v[92:93], v[234:235], -v[4:5]
	v_add_f64 v[4:5], v[0:1], v[45:46]
	v_fma_f64 v[0:1], v[8:9], s[4:5], v[6:7]
	v_fma_f64 v[8:9], v[8:9], s[2:3], v[6:7]
	v_add_f64 v[6:7], v[2:3], v[47:48]
	v_add_f64 v[45:46], v[70:71], -v[74:75]
	v_add_f64 v[4:5], v[4:5], v[49:50]
	v_add_f64 v[6:7], v[6:7], v[10:11]
	;; [unrolled: 1-line block ×3, first 2 shown]
	v_add_f64 v[47:48], v[68:69], -v[72:73]
	v_fma_f64 v[10:11], v[10:11], -0.5, v[2:3]
	v_fma_f64 v[2:3], v[16:17], s[2:3], v[10:11]
	v_fma_f64 v[10:11], v[16:17], s[4:5], v[10:11]
	v_add_f64 v[16:17], v[12:13], v[51:52]
	v_fma_f64 v[12:13], v[20:21], s[4:5], v[18:19]
	v_fma_f64 v[20:21], v[20:21], s[2:3], v[18:19]
	v_add_f64 v[18:19], v[14:15], v[53:54]
	v_add_f64 v[16:17], v[16:17], v[60:61]
	v_fma_f64 v[60:61], v[45:46], s[2:3], v[42:43]
	v_add_f64 v[18:19], v[18:19], v[22:23]
	v_add_f64 v[22:23], v[53:54], v[22:23]
	v_fma_f64 v[22:23], v[22:23], -0.5, v[14:15]
	v_fma_f64 v[14:15], v[28:29], s[2:3], v[22:23]
	v_fma_f64 v[22:23], v[28:29], s[4:5], v[22:23]
	v_add_f64 v[28:29], v[24:25], v[62:63]
	v_fma_f64 v[24:25], v[32:33], s[4:5], v[30:31]
	v_fma_f64 v[32:33], v[32:33], s[2:3], v[30:31]
	v_add_f64 v[30:31], v[26:27], v[64:65]
	v_add_f64 v[28:29], v[28:29], v[66:67]
	;; [unrolled: 1-line block ×4, first 2 shown]
	v_fma_f64 v[34:35], v[34:35], -0.5, v[26:27]
	v_fma_f64 v[26:27], v[40:41], s[2:3], v[34:35]
	v_fma_f64 v[34:35], v[40:41], s[4:5], v[34:35]
	v_add_f64 v[40:41], v[36:37], v[68:69]
	v_fma_f64 v[36:37], v[45:46], s[4:5], v[42:43]
	v_add_f64 v[45:46], v[70:71], v[74:75]
	v_add_f64 v[42:43], v[38:39], v[70:71]
	;; [unrolled: 1-line block ×3, first 2 shown]
	v_fma_f64 v[45:46], v[45:46], -0.5, v[38:39]
	v_add_f64 v[42:43], v[42:43], v[74:75]
	v_fma_f64 v[38:39], v[47:48], s[2:3], v[45:46]
	v_fma_f64 v[62:63], v[47:48], s[4:5], v[45:46]
	v_add_f64 v[45:46], v[224:225], v[76:77]
	v_add_f64 v[47:48], v[78:79], -v[82:83]
	v_add_f64 v[64:65], v[45:46], v[80:81]
	v_add_f64 v[45:46], v[76:77], v[80:81]
	v_fma_f64 v[45:46], v[45:46], -0.5, v[224:225]
	v_fma_f64 v[68:69], v[47:48], s[4:5], v[45:46]
	v_fma_f64 v[72:73], v[47:48], s[2:3], v[45:46]
	v_add_f64 v[45:46], v[226:227], v[78:79]
	v_add_f64 v[47:48], v[76:77], -v[80:81]
	v_add_f64 v[66:67], v[45:46], v[82:83]
	v_add_f64 v[45:46], v[78:79], v[82:83]
	v_fma_f64 v[45:46], v[45:46], -0.5, v[226:227]
	v_fma_f64 v[70:71], v[47:48], s[2:3], v[45:46]
	v_fma_f64 v[74:75], v[47:48], s[4:5], v[45:46]
	buffer_load_dword v45, off, s[24:27], 0 offset:252 ; 4-byte Folded Reload
	s_waitcnt vmcnt(0)
	ds_write_b128 v45, v[4:7]
	ds_write_b128 v45, v[0:3] offset:80
	ds_write_b128 v45, v[8:11] offset:160
	buffer_load_dword v0, off, s[24:27], 0 offset:244 ; 4-byte Folded Reload
	s_waitcnt vmcnt(0)
	ds_write_b128 v0, v[16:19]
	ds_write_b128 v0, v[12:15] offset:80
	ds_write_b128 v0, v[20:23] offset:160
	;; [unrolled: 5-line block ×5, first 2 shown]
	s_waitcnt lgkmcnt(0)
	s_barrier
	buffer_gl0_inv
	ds_read_b128 v[0:3], v44
	ds_read_b128 v[4:7], v44 offset:2160
	ds_read_b128 v[8:11], v44 offset:4320
	;; [unrolled: 1-line block ×14, first 2 shown]
	s_waitcnt lgkmcnt(0)
	s_barrier
	buffer_gl0_inv
	v_mul_f64 v[45:46], v[106:107], v[6:7]
	v_fma_f64 v[45:46], v[104:105], v[4:5], v[45:46]
	v_mul_f64 v[4:5], v[106:107], v[4:5]
	v_fma_f64 v[47:48], v[104:105], v[6:7], -v[4:5]
	v_mul_f64 v[4:5], v[102:103], v[10:11]
	v_fma_f64 v[49:50], v[100:101], v[8:9], v[4:5]
	v_mul_f64 v[4:5], v[102:103], v[8:9]
	v_add_f64 v[6:7], v[45:46], v[49:50]
	v_fma_f64 v[10:11], v[100:101], v[10:11], -v[4:5]
	v_mul_f64 v[4:5], v[114:115], v[18:19]
	v_fma_f64 v[6:7], v[6:7], -0.5, v[0:1]
	v_add_f64 v[8:9], v[47:48], -v[10:11]
	v_fma_f64 v[51:52], v[112:113], v[16:17], v[4:5]
	v_mul_f64 v[4:5], v[114:115], v[16:17]
	v_add_f64 v[16:17], v[45:46], -v[49:50]
	v_fma_f64 v[53:54], v[112:113], v[18:19], -v[4:5]
	v_mul_f64 v[4:5], v[110:111], v[22:23]
	v_fma_f64 v[76:77], v[108:109], v[20:21], v[4:5]
	v_mul_f64 v[4:5], v[110:111], v[20:21]
	v_add_f64 v[18:19], v[51:52], v[76:77]
	v_fma_f64 v[22:23], v[108:109], v[22:23], -v[4:5]
	v_mul_f64 v[4:5], v[126:127], v[30:31]
	v_fma_f64 v[18:19], v[18:19], -0.5, v[12:13]
	v_add_f64 v[20:21], v[53:54], -v[22:23]
	v_fma_f64 v[78:79], v[124:125], v[28:29], v[4:5]
	v_mul_f64 v[4:5], v[126:127], v[28:29]
	v_add_f64 v[28:29], v[51:52], -v[76:77]
	;; [unrolled: 12-line block ×3, first 2 shown]
	v_fma_f64 v[86:87], v[144:145], v[42:43], -v[4:5]
	v_mul_f64 v[4:5], v[138:139], v[62:63]
	v_fma_f64 v[88:89], v[136:137], v[60:61], v[4:5]
	v_mul_f64 v[4:5], v[138:139], v[60:61]
	v_add_f64 v[42:43], v[84:85], v[88:89]
	v_fma_f64 v[62:63], v[136:137], v[62:63], -v[4:5]
	v_mul_f64 v[4:5], v[162:163], v[70:71]
	v_fma_f64 v[42:43], v[42:43], -0.5, v[36:37]
	v_fma_f64 v[90:91], v[160:161], v[68:69], v[4:5]
	v_mul_f64 v[4:5], v[162:163], v[68:69]
	v_fma_f64 v[92:93], v[160:161], v[70:71], -v[4:5]
	v_mul_f64 v[4:5], v[154:155], v[74:75]
	v_fma_f64 v[94:95], v[152:153], v[72:73], v[4:5]
	v_mul_f64 v[4:5], v[154:155], v[72:73]
	v_fma_f64 v[74:75], v[152:153], v[74:75], -v[4:5]
	v_add_f64 v[4:5], v[0:1], v[45:46]
	v_fma_f64 v[0:1], v[8:9], s[4:5], v[6:7]
	v_fma_f64 v[8:9], v[8:9], s[2:3], v[6:7]
	v_add_f64 v[6:7], v[2:3], v[47:48]
	v_add_f64 v[45:46], v[86:87], -v[62:63]
	v_add_f64 v[4:5], v[4:5], v[49:50]
	v_add_f64 v[6:7], v[6:7], v[10:11]
	;; [unrolled: 1-line block ×3, first 2 shown]
	v_fma_f64 v[60:61], v[45:46], s[2:3], v[42:43]
	v_add_f64 v[47:48], v[84:85], -v[88:89]
	v_fma_f64 v[10:11], v[10:11], -0.5, v[2:3]
	v_fma_f64 v[2:3], v[16:17], s[2:3], v[10:11]
	v_fma_f64 v[10:11], v[16:17], s[4:5], v[10:11]
	v_add_f64 v[16:17], v[12:13], v[51:52]
	v_fma_f64 v[12:13], v[20:21], s[4:5], v[18:19]
	v_fma_f64 v[20:21], v[20:21], s[2:3], v[18:19]
	v_add_f64 v[18:19], v[14:15], v[53:54]
	v_add_f64 v[16:17], v[16:17], v[76:77]
	;; [unrolled: 1-line block ×4, first 2 shown]
	v_fma_f64 v[22:23], v[22:23], -0.5, v[14:15]
	v_fma_f64 v[14:15], v[28:29], s[2:3], v[22:23]
	v_fma_f64 v[22:23], v[28:29], s[4:5], v[22:23]
	v_add_f64 v[28:29], v[24:25], v[78:79]
	v_fma_f64 v[24:25], v[32:33], s[4:5], v[30:31]
	v_fma_f64 v[32:33], v[32:33], s[2:3], v[30:31]
	v_add_f64 v[30:31], v[26:27], v[80:81]
	v_add_f64 v[28:29], v[28:29], v[82:83]
	;; [unrolled: 1-line block ×4, first 2 shown]
	v_fma_f64 v[34:35], v[34:35], -0.5, v[26:27]
	v_fma_f64 v[26:27], v[40:41], s[2:3], v[34:35]
	v_fma_f64 v[34:35], v[40:41], s[4:5], v[34:35]
	v_add_f64 v[40:41], v[36:37], v[84:85]
	v_fma_f64 v[36:37], v[45:46], s[4:5], v[42:43]
	v_add_f64 v[45:46], v[86:87], v[62:63]
	v_add_f64 v[42:43], v[38:39], v[86:87]
	;; [unrolled: 1-line block ×3, first 2 shown]
	v_fma_f64 v[45:46], v[45:46], -0.5, v[38:39]
	v_add_f64 v[42:43], v[42:43], v[62:63]
	v_fma_f64 v[38:39], v[47:48], s[2:3], v[45:46]
	v_fma_f64 v[62:63], v[47:48], s[4:5], v[45:46]
	v_add_f64 v[45:46], v[64:65], v[90:91]
	v_add_f64 v[47:48], v[92:93], -v[74:75]
	v_add_f64 v[68:69], v[45:46], v[94:95]
	v_add_f64 v[45:46], v[90:91], v[94:95]
	v_fma_f64 v[45:46], v[45:46], -0.5, v[64:65]
	v_fma_f64 v[64:65], v[47:48], s[4:5], v[45:46]
	v_fma_f64 v[72:73], v[47:48], s[2:3], v[45:46]
	v_add_f64 v[45:46], v[66:67], v[92:93]
	v_add_f64 v[47:48], v[90:91], -v[94:95]
	v_add_f64 v[70:71], v[45:46], v[74:75]
	v_add_f64 v[45:46], v[92:93], v[74:75]
	v_fma_f64 v[45:46], v[45:46], -0.5, v[66:67]
	v_fma_f64 v[66:67], v[47:48], s[2:3], v[45:46]
	v_fma_f64 v[74:75], v[47:48], s[4:5], v[45:46]
	buffer_load_dword v45, off, s[24:27], 0 offset:268 ; 4-byte Folded Reload
	s_waitcnt vmcnt(0)
	ds_write_b128 v45, v[4:7]
	ds_write_b128 v45, v[0:3] offset:240
	ds_write_b128 v45, v[8:11] offset:480
	buffer_load_dword v0, off, s[24:27], 0 offset:264 ; 4-byte Folded Reload
	s_waitcnt vmcnt(0)
	ds_write_b128 v0, v[16:19]
	ds_write_b128 v0, v[12:15] offset:240
	ds_write_b128 v0, v[20:23] offset:480
	;; [unrolled: 5-line block ×5, first 2 shown]
	s_waitcnt lgkmcnt(0)
	s_barrier
	buffer_gl0_inv
	ds_read_b128 v[0:3], v44
	ds_read_b128 v[4:7], v44 offset:2160
	ds_read_b128 v[8:11], v44 offset:4320
	;; [unrolled: 1-line block ×14, first 2 shown]
	s_waitcnt lgkmcnt(0)
	s_barrier
	buffer_gl0_inv
	v_mul_f64 v[45:46], v[130:131], v[6:7]
	v_fma_f64 v[45:46], v[128:129], v[4:5], v[45:46]
	v_mul_f64 v[4:5], v[130:131], v[4:5]
	v_fma_f64 v[47:48], v[128:129], v[6:7], -v[4:5]
	v_mul_f64 v[4:5], v[118:119], v[10:11]
	v_fma_f64 v[49:50], v[116:117], v[8:9], v[4:5]
	v_mul_f64 v[4:5], v[118:119], v[8:9]
	v_add_f64 v[6:7], v[45:46], v[49:50]
	v_fma_f64 v[10:11], v[116:117], v[10:11], -v[4:5]
	v_mul_f64 v[4:5], v[142:143], v[18:19]
	v_fma_f64 v[6:7], v[6:7], -0.5, v[0:1]
	v_add_f64 v[8:9], v[47:48], -v[10:11]
	v_fma_f64 v[51:52], v[140:141], v[16:17], v[4:5]
	v_mul_f64 v[4:5], v[142:143], v[16:17]
	v_add_f64 v[16:17], v[45:46], -v[49:50]
	v_fma_f64 v[53:54], v[140:141], v[18:19], -v[4:5]
	v_mul_f64 v[4:5], v[134:135], v[22:23]
	v_fma_f64 v[76:77], v[132:133], v[20:21], v[4:5]
	v_mul_f64 v[4:5], v[134:135], v[20:21]
	v_add_f64 v[18:19], v[51:52], v[76:77]
	v_fma_f64 v[22:23], v[132:133], v[22:23], -v[4:5]
	v_mul_f64 v[4:5], v[158:159], v[30:31]
	v_fma_f64 v[18:19], v[18:19], -0.5, v[12:13]
	v_add_f64 v[20:21], v[53:54], -v[22:23]
	v_fma_f64 v[78:79], v[156:157], v[28:29], v[4:5]
	v_mul_f64 v[4:5], v[158:159], v[28:29]
	v_add_f64 v[28:29], v[51:52], -v[76:77]
	;; [unrolled: 12-line block ×3, first 2 shown]
	v_fma_f64 v[86:87], v[168:169], v[42:43], -v[4:5]
	v_mul_f64 v[4:5], v[166:167], v[62:63]
	v_fma_f64 v[88:89], v[164:165], v[60:61], v[4:5]
	v_mul_f64 v[4:5], v[166:167], v[60:61]
	v_add_f64 v[42:43], v[84:85], v[88:89]
	v_fma_f64 v[62:63], v[164:165], v[62:63], -v[4:5]
	v_mul_f64 v[4:5], v[178:179], v[70:71]
	v_fma_f64 v[42:43], v[42:43], -0.5, v[36:37]
	v_fma_f64 v[90:91], v[176:177], v[68:69], v[4:5]
	v_mul_f64 v[4:5], v[178:179], v[68:69]
	v_fma_f64 v[92:93], v[176:177], v[70:71], -v[4:5]
	v_mul_f64 v[4:5], v[174:175], v[74:75]
	v_fma_f64 v[94:95], v[172:173], v[72:73], v[4:5]
	v_mul_f64 v[4:5], v[174:175], v[72:73]
	v_fma_f64 v[74:75], v[172:173], v[74:75], -v[4:5]
	v_add_f64 v[4:5], v[0:1], v[45:46]
	v_fma_f64 v[0:1], v[8:9], s[4:5], v[6:7]
	v_fma_f64 v[8:9], v[8:9], s[2:3], v[6:7]
	v_add_f64 v[6:7], v[2:3], v[47:48]
	v_add_f64 v[45:46], v[86:87], -v[62:63]
	v_add_f64 v[4:5], v[4:5], v[49:50]
	v_add_f64 v[6:7], v[6:7], v[10:11]
	;; [unrolled: 1-line block ×3, first 2 shown]
	v_fma_f64 v[60:61], v[45:46], s[2:3], v[42:43]
	v_add_f64 v[47:48], v[84:85], -v[88:89]
	v_fma_f64 v[10:11], v[10:11], -0.5, v[2:3]
	v_fma_f64 v[2:3], v[16:17], s[2:3], v[10:11]
	v_fma_f64 v[10:11], v[16:17], s[4:5], v[10:11]
	ds_write_b128 v44, v[4:7]
	ds_write_b128 v44, v[0:3] offset:720
	ds_write_b128 v44, v[8:11] offset:1440
	buffer_load_dword v0, off, s[24:27], 0 offset:280 ; 4-byte Folded Reload
	v_add_f64 v[16:17], v[12:13], v[51:52]
	v_fma_f64 v[12:13], v[20:21], s[4:5], v[18:19]
	v_fma_f64 v[20:21], v[20:21], s[2:3], v[18:19]
	v_add_f64 v[18:19], v[14:15], v[53:54]
	v_add_f64 v[16:17], v[16:17], v[76:77]
	;; [unrolled: 1-line block ×4, first 2 shown]
	v_fma_f64 v[22:23], v[22:23], -0.5, v[14:15]
	v_fma_f64 v[14:15], v[28:29], s[2:3], v[22:23]
	v_fma_f64 v[22:23], v[28:29], s[4:5], v[22:23]
	v_add_f64 v[28:29], v[24:25], v[78:79]
	v_fma_f64 v[24:25], v[32:33], s[4:5], v[30:31]
	v_fma_f64 v[32:33], v[32:33], s[2:3], v[30:31]
	v_add_f64 v[30:31], v[26:27], v[80:81]
	v_add_f64 v[28:29], v[28:29], v[82:83]
	v_add_f64 v[30:31], v[30:31], v[34:35]
	v_add_f64 v[34:35], v[80:81], v[34:35]
	v_fma_f64 v[34:35], v[34:35], -0.5, v[26:27]
	v_fma_f64 v[26:27], v[40:41], s[2:3], v[34:35]
	v_fma_f64 v[34:35], v[40:41], s[4:5], v[34:35]
	s_waitcnt vmcnt(0)
	ds_write_b128 v0, v[16:19]
	ds_write_b128 v0, v[12:15] offset:720
	ds_write_b128 v0, v[20:23] offset:1440
	;; [unrolled: 1-line block ×5, first 2 shown]
	buffer_load_dword v0, off, s[24:27], 0 offset:276 ; 4-byte Folded Reload
	v_add_f64 v[40:41], v[36:37], v[84:85]
	v_fma_f64 v[36:37], v[45:46], s[4:5], v[42:43]
	v_add_f64 v[45:46], v[86:87], v[62:63]
	v_add_f64 v[42:43], v[38:39], v[86:87]
	;; [unrolled: 1-line block ×3, first 2 shown]
	v_fma_f64 v[45:46], v[45:46], -0.5, v[38:39]
	v_add_f64 v[42:43], v[42:43], v[62:63]
	v_fma_f64 v[38:39], v[47:48], s[2:3], v[45:46]
	v_fma_f64 v[62:63], v[47:48], s[4:5], v[45:46]
	s_waitcnt vmcnt(0)
	ds_write_b128 v0, v[40:43]
	ds_write_b128 v0, v[36:39] offset:720
	ds_write_b128 v0, v[60:63] offset:1440
	buffer_load_dword v0, off, s[24:27], 0 offset:272 ; 4-byte Folded Reload
	v_add_f64 v[45:46], v[64:65], v[90:91]
	v_add_f64 v[47:48], v[92:93], -v[74:75]
	v_add_f64 v[68:69], v[45:46], v[94:95]
	v_add_f64 v[45:46], v[90:91], v[94:95]
	v_fma_f64 v[45:46], v[45:46], -0.5, v[64:65]
	v_fma_f64 v[64:65], v[47:48], s[4:5], v[45:46]
	v_fma_f64 v[72:73], v[47:48], s[2:3], v[45:46]
	v_add_f64 v[45:46], v[66:67], v[92:93]
	v_add_f64 v[47:48], v[90:91], -v[94:95]
	v_add_f64 v[70:71], v[45:46], v[74:75]
	v_add_f64 v[45:46], v[92:93], v[74:75]
	v_fma_f64 v[45:46], v[45:46], -0.5, v[66:67]
	v_fma_f64 v[66:67], v[47:48], s[2:3], v[45:46]
	v_fma_f64 v[74:75], v[47:48], s[4:5], v[45:46]
	s_waitcnt vmcnt(0)
	ds_write_b128 v0, v[68:71] offset:4320
	ds_write_b128 v0, v[64:67] offset:5040
	;; [unrolled: 1-line block ×3, first 2 shown]
	s_waitcnt lgkmcnt(0)
	s_barrier
	buffer_gl0_inv
	ds_read_b128 v[0:3], v44
	ds_read_b128 v[4:7], v44 offset:2160
	ds_read_b128 v[8:11], v44 offset:4320
	;; [unrolled: 1-line block ×14, first 2 shown]
	s_waitcnt lgkmcnt(13)
	v_mul_f64 v[45:46], v[186:187], v[6:7]
	v_fma_f64 v[45:46], v[184:185], v[4:5], v[45:46]
	v_mul_f64 v[4:5], v[186:187], v[4:5]
	v_fma_f64 v[47:48], v[184:185], v[6:7], -v[4:5]
	s_waitcnt lgkmcnt(12)
	v_mul_f64 v[4:5], v[182:183], v[10:11]
	v_fma_f64 v[49:50], v[180:181], v[8:9], v[4:5]
	v_mul_f64 v[4:5], v[182:183], v[8:9]
	v_add_f64 v[6:7], v[45:46], v[49:50]
	v_fma_f64 v[10:11], v[180:181], v[10:11], -v[4:5]
	s_waitcnt lgkmcnt(10)
	v_mul_f64 v[4:5], v[194:195], v[18:19]
	v_fma_f64 v[6:7], v[6:7], -0.5, v[0:1]
	v_add_f64 v[8:9], v[47:48], -v[10:11]
	v_fma_f64 v[51:52], v[192:193], v[16:17], v[4:5]
	v_mul_f64 v[4:5], v[194:195], v[16:17]
	v_add_f64 v[16:17], v[45:46], -v[49:50]
	v_fma_f64 v[53:54], v[192:193], v[18:19], -v[4:5]
	s_waitcnt lgkmcnt(9)
	v_mul_f64 v[4:5], v[190:191], v[22:23]
	v_fma_f64 v[76:77], v[188:189], v[20:21], v[4:5]
	v_mul_f64 v[4:5], v[190:191], v[20:21]
	v_add_f64 v[18:19], v[51:52], v[76:77]
	v_fma_f64 v[22:23], v[188:189], v[22:23], -v[4:5]
	s_waitcnt lgkmcnt(7)
	v_mul_f64 v[4:5], v[202:203], v[30:31]
	v_fma_f64 v[18:19], v[18:19], -0.5, v[12:13]
	v_add_f64 v[20:21], v[53:54], -v[22:23]
	v_fma_f64 v[78:79], v[200:201], v[28:29], v[4:5]
	v_mul_f64 v[4:5], v[202:203], v[28:29]
	v_add_f64 v[28:29], v[51:52], -v[76:77]
	;; [unrolled: 14-line block ×3, first 2 shown]
	v_fma_f64 v[86:87], v[208:209], v[42:43], -v[4:5]
	s_waitcnt lgkmcnt(3)
	v_mul_f64 v[4:5], v[206:207], v[62:63]
	v_fma_f64 v[88:89], v[204:205], v[60:61], v[4:5]
	v_mul_f64 v[4:5], v[206:207], v[60:61]
	v_add_f64 v[42:43], v[84:85], v[88:89]
	v_fma_f64 v[62:63], v[204:205], v[62:63], -v[4:5]
	s_waitcnt lgkmcnt(1)
	v_mul_f64 v[4:5], v[218:219], v[70:71]
	v_fma_f64 v[42:43], v[42:43], -0.5, v[36:37]
	v_fma_f64 v[90:91], v[216:217], v[68:69], v[4:5]
	v_mul_f64 v[4:5], v[218:219], v[68:69]
	v_fma_f64 v[92:93], v[216:217], v[70:71], -v[4:5]
	s_waitcnt lgkmcnt(0)
	v_mul_f64 v[4:5], v[214:215], v[74:75]
	v_fma_f64 v[94:95], v[212:213], v[72:73], v[4:5]
	v_mul_f64 v[4:5], v[214:215], v[72:73]
	v_fma_f64 v[74:75], v[212:213], v[74:75], -v[4:5]
	v_add_f64 v[4:5], v[0:1], v[45:46]
	v_fma_f64 v[0:1], v[8:9], s[4:5], v[6:7]
	v_fma_f64 v[8:9], v[8:9], s[2:3], v[6:7]
	v_add_f64 v[6:7], v[2:3], v[47:48]
	v_add_f64 v[45:46], v[86:87], -v[62:63]
	v_add_f64 v[4:5], v[4:5], v[49:50]
	v_add_f64 v[6:7], v[6:7], v[10:11]
	;; [unrolled: 1-line block ×3, first 2 shown]
	v_fma_f64 v[60:61], v[45:46], s[2:3], v[42:43]
	v_add_f64 v[47:48], v[84:85], -v[88:89]
	v_fma_f64 v[10:11], v[10:11], -0.5, v[2:3]
	v_fma_f64 v[2:3], v[16:17], s[2:3], v[10:11]
	v_fma_f64 v[10:11], v[16:17], s[4:5], v[10:11]
	v_add_f64 v[16:17], v[12:13], v[51:52]
	v_fma_f64 v[12:13], v[20:21], s[4:5], v[18:19]
	v_fma_f64 v[20:21], v[20:21], s[2:3], v[18:19]
	v_add_f64 v[18:19], v[14:15], v[53:54]
	v_add_f64 v[16:17], v[16:17], v[76:77]
	;; [unrolled: 1-line block ×4, first 2 shown]
	v_fma_f64 v[22:23], v[22:23], -0.5, v[14:15]
	v_fma_f64 v[14:15], v[28:29], s[2:3], v[22:23]
	v_fma_f64 v[22:23], v[28:29], s[4:5], v[22:23]
	v_add_f64 v[28:29], v[24:25], v[78:79]
	v_fma_f64 v[24:25], v[32:33], s[4:5], v[30:31]
	v_fma_f64 v[32:33], v[32:33], s[2:3], v[30:31]
	v_add_f64 v[30:31], v[26:27], v[80:81]
	v_add_f64 v[28:29], v[28:29], v[82:83]
	;; [unrolled: 1-line block ×4, first 2 shown]
	v_fma_f64 v[34:35], v[34:35], -0.5, v[26:27]
	v_fma_f64 v[26:27], v[40:41], s[2:3], v[34:35]
	v_fma_f64 v[34:35], v[40:41], s[4:5], v[34:35]
	v_add_f64 v[40:41], v[36:37], v[84:85]
	v_fma_f64 v[36:37], v[45:46], s[4:5], v[42:43]
	v_add_f64 v[45:46], v[86:87], v[62:63]
	v_add_f64 v[42:43], v[38:39], v[86:87]
	v_add_f64 v[40:41], v[40:41], v[88:89]
	v_fma_f64 v[45:46], v[45:46], -0.5, v[38:39]
	v_add_f64 v[42:43], v[42:43], v[62:63]
	v_fma_f64 v[38:39], v[47:48], s[2:3], v[45:46]
	v_fma_f64 v[62:63], v[47:48], s[4:5], v[45:46]
	v_add_f64 v[45:46], v[64:65], v[90:91]
	v_add_f64 v[47:48], v[92:93], -v[74:75]
	v_add_f64 v[68:69], v[45:46], v[94:95]
	v_add_f64 v[45:46], v[90:91], v[94:95]
	v_fma_f64 v[45:46], v[45:46], -0.5, v[64:65]
	v_fma_f64 v[64:65], v[47:48], s[4:5], v[45:46]
	v_fma_f64 v[72:73], v[47:48], s[2:3], v[45:46]
	v_add_f64 v[45:46], v[66:67], v[92:93]
	v_add_f64 v[47:48], v[90:91], -v[94:95]
	v_add_f64 v[70:71], v[45:46], v[74:75]
	v_add_f64 v[45:46], v[92:93], v[74:75]
	v_fma_f64 v[45:46], v[45:46], -0.5, v[66:67]
	v_fma_f64 v[66:67], v[47:48], s[2:3], v[45:46]
	v_fma_f64 v[74:75], v[47:48], s[4:5], v[45:46]
	ds_write_b128 v44, v[4:7]
	ds_write_b128 v44, v[0:3] offset:2160
	ds_write_b128 v44, v[8:11] offset:4320
	;; [unrolled: 1-line block ×14, first 2 shown]
	s_waitcnt lgkmcnt(0)
	s_barrier
	buffer_gl0_inv
	ds_read_b128 v[0:3], v44
	s_clause 0x3
	buffer_load_dword v6, off, s[24:27], 0 offset:168
	buffer_load_dword v7, off, s[24:27], 0 offset:172
	;; [unrolled: 1-line block ×4, first 2 shown]
	s_mov_b32 s2, 0x30abee4d
	s_mov_b32 s3, 0x3f643a27
	s_mul_i32 s4, s1, 0x510
	s_mul_hi_u32 s5, s0, 0x510
	s_add_i32 s4, s5, s4
	s_mul_i32 s5, s0, 0x510
	s_waitcnt vmcnt(0) lgkmcnt(0)
	v_mul_f64 v[4:5], v[8:9], v[2:3]
	v_fma_f64 v[4:5], v[6:7], v[0:1], v[4:5]
	v_mul_f64 v[0:1], v[8:9], v[0:1]
	v_mul_f64 v[4:5], v[4:5], s[2:3]
	v_fma_f64 v[0:1], v[6:7], v[2:3], -v[0:1]
	v_mul_f64 v[6:7], v[0:1], s[2:3]
	v_mad_u64_u32 v[0:1], null, s0, v55, 0
	v_mad_u64_u32 v[1:2], null, s1, v55, v[1:2]
	s_clause 0x1
	buffer_load_dword v2, off, s[24:27], 0 offset:160
	buffer_load_dword v3, off, s[24:27], 0 offset:164
	s_mulk_i32 s1, 0xed70
	s_sub_i32 s1, s1, s0
	v_lshlrev_b64 v[0:1], 4, v[0:1]
	s_waitcnt vmcnt(0)
	v_lshlrev_b64 v[2:3], 4, v[2:3]
	v_add_co_u32 v2, vcc_lo, s12, v2
	v_add_co_ci_u32_e32 v3, vcc_lo, s13, v3, vcc_lo
	v_add_co_u32 v8, vcc_lo, v2, v0
	v_add_co_ci_u32_e32 v9, vcc_lo, v3, v1, vcc_lo
	ds_read_b128 v[0:3], v44 offset:1296
	global_store_dwordx4 v[8:9], v[4:7], off
	s_clause 0x3
	buffer_load_dword v10, off, s[24:27], 0 offset:184
	buffer_load_dword v11, off, s[24:27], 0 offset:188
	buffer_load_dword v12, off, s[24:27], 0 offset:192
	buffer_load_dword v13, off, s[24:27], 0 offset:196
	v_add_co_u32 v8, vcc_lo, v8, s5
	v_add_co_ci_u32_e32 v9, vcc_lo, s4, v9, vcc_lo
	s_waitcnt vmcnt(0) lgkmcnt(0)
	v_mul_f64 v[4:5], v[12:13], v[2:3]
	v_fma_f64 v[4:5], v[10:11], v[0:1], v[4:5]
	v_mul_f64 v[0:1], v[12:13], v[0:1]
	v_mul_f64 v[4:5], v[4:5], s[2:3]
	v_fma_f64 v[0:1], v[10:11], v[2:3], -v[0:1]
	v_mul_f64 v[6:7], v[0:1], s[2:3]
	ds_read_b128 v[0:3], v44 offset:2592
	global_store_dwordx4 v[8:9], v[4:7], off
	s_clause 0x3
	buffer_load_dword v10, off, s[24:27], 0 offset:200
	buffer_load_dword v11, off, s[24:27], 0 offset:204
	buffer_load_dword v12, off, s[24:27], 0 offset:208
	buffer_load_dword v13, off, s[24:27], 0 offset:212
	v_add_co_u32 v8, vcc_lo, v8, s5
	v_add_co_ci_u32_e32 v9, vcc_lo, s4, v9, vcc_lo
	s_waitcnt vmcnt(0) lgkmcnt(0)
	v_mul_f64 v[4:5], v[12:13], v[2:3]
	v_fma_f64 v[4:5], v[10:11], v[0:1], v[4:5]
	v_mul_f64 v[0:1], v[12:13], v[0:1]
	v_mul_f64 v[4:5], v[4:5], s[2:3]
	v_fma_f64 v[0:1], v[10:11], v[2:3], -v[0:1]
	v_mul_f64 v[6:7], v[0:1], s[2:3]
	;; [unrolled: 16-line block ×3, first 2 shown]
	ds_read_b128 v[0:3], v44 offset:5184
	global_store_dwordx4 v[8:9], v[4:7], off
	s_waitcnt lgkmcnt(0)
	v_mul_f64 v[4:5], v[58:59], v[2:3]
	v_fma_f64 v[4:5], v[56:57], v[0:1], v[4:5]
	v_mul_f64 v[0:1], v[58:59], v[0:1]
	v_mul_f64 v[4:5], v[4:5], s[2:3]
	v_fma_f64 v[0:1], v[56:57], v[2:3], -v[0:1]
	v_mul_f64 v[6:7], v[0:1], s[2:3]
	v_add_co_u32 v0, vcc_lo, v8, s5
	v_add_co_ci_u32_e32 v1, vcc_lo, s4, v9, vcc_lo
	global_store_dwordx4 v[0:1], v[4:7], off
	ds_read_b128 v[2:5], v44 offset:432
	s_clause 0x3
	buffer_load_dword v8, off, s[24:27], 0 offset:128
	buffer_load_dword v9, off, s[24:27], 0 offset:132
	;; [unrolled: 1-line block ×4, first 2 shown]
	s_waitcnt vmcnt(0) lgkmcnt(0)
	v_mul_f64 v[6:7], v[10:11], v[4:5]
	v_fma_f64 v[6:7], v[8:9], v[2:3], v[6:7]
	v_mul_f64 v[2:3], v[10:11], v[2:3]
	v_mad_u64_u32 v[10:11], null, 0xffffed70, s0, v[0:1]
	v_add_nc_u32_e32 v11, s1, v11
	v_mul_f64 v[6:7], v[6:7], s[2:3]
	v_fma_f64 v[2:3], v[8:9], v[4:5], -v[2:3]
	v_mul_f64 v[8:9], v[2:3], s[2:3]
	ds_read_b128 v[0:3], v44 offset:1728
	global_store_dwordx4 v[10:11], v[6:9], off
	s_clause 0x3
	buffer_load_dword v6, off, s[24:27], 0 offset:112
	buffer_load_dword v7, off, s[24:27], 0 offset:116
	;; [unrolled: 1-line block ×4, first 2 shown]
	s_waitcnt vmcnt(0) lgkmcnt(0)
	v_mul_f64 v[4:5], v[8:9], v[2:3]
	v_fma_f64 v[4:5], v[6:7], v[0:1], v[4:5]
	v_mul_f64 v[0:1], v[8:9], v[0:1]
	v_add_co_u32 v8, vcc_lo, v10, s5
	v_add_co_ci_u32_e32 v9, vcc_lo, s4, v11, vcc_lo
	v_mul_f64 v[4:5], v[4:5], s[2:3]
	v_fma_f64 v[0:1], v[6:7], v[2:3], -v[0:1]
	v_mul_f64 v[6:7], v[0:1], s[2:3]
	ds_read_b128 v[0:3], v44 offset:3024
	global_store_dwordx4 v[8:9], v[4:7], off
	s_clause 0x3
	buffer_load_dword v10, off, s[24:27], 0 offset:96
	buffer_load_dword v11, off, s[24:27], 0 offset:100
	buffer_load_dword v12, off, s[24:27], 0 offset:104
	buffer_load_dword v13, off, s[24:27], 0 offset:108
	v_add_co_u32 v8, vcc_lo, v8, s5
	v_add_co_ci_u32_e32 v9, vcc_lo, s4, v9, vcc_lo
	s_waitcnt vmcnt(0) lgkmcnt(0)
	v_mul_f64 v[4:5], v[12:13], v[2:3]
	v_fma_f64 v[4:5], v[10:11], v[0:1], v[4:5]
	v_mul_f64 v[0:1], v[12:13], v[0:1]
	v_mul_f64 v[4:5], v[4:5], s[2:3]
	v_fma_f64 v[0:1], v[10:11], v[2:3], -v[0:1]
	v_mul_f64 v[6:7], v[0:1], s[2:3]
	ds_read_b128 v[0:3], v44 offset:4320
	global_store_dwordx4 v[8:9], v[4:7], off
	s_clause 0x3
	buffer_load_dword v10, off, s[24:27], 0 offset:80
	buffer_load_dword v11, off, s[24:27], 0 offset:84
	buffer_load_dword v12, off, s[24:27], 0 offset:88
	buffer_load_dword v13, off, s[24:27], 0 offset:92
	v_add_co_u32 v8, vcc_lo, v8, s5
	v_add_co_ci_u32_e32 v9, vcc_lo, s4, v9, vcc_lo
	s_waitcnt vmcnt(0) lgkmcnt(0)
	v_mul_f64 v[4:5], v[12:13], v[2:3]
	v_fma_f64 v[4:5], v[10:11], v[0:1], v[4:5]
	v_mul_f64 v[0:1], v[12:13], v[0:1]
	;; [unrolled: 16-line block ×3, first 2 shown]
	v_mul_f64 v[4:5], v[4:5], s[2:3]
	v_fma_f64 v[0:1], v[10:11], v[2:3], -v[0:1]
	v_mul_f64 v[6:7], v[0:1], s[2:3]
	ds_read_b128 v[0:3], v44 offset:864
	global_store_dwordx4 v[8:9], v[4:7], off
	s_clause 0x3
	buffer_load_dword v10, off, s[24:27], 0 offset:48
	buffer_load_dword v11, off, s[24:27], 0 offset:52
	;; [unrolled: 1-line block ×4, first 2 shown]
	v_mad_u64_u32 v[8:9], null, 0xffffed70, s0, v[8:9]
	v_add_nc_u32_e32 v9, s1, v9
	s_waitcnt vmcnt(0) lgkmcnt(0)
	v_mul_f64 v[4:5], v[12:13], v[2:3]
	v_fma_f64 v[4:5], v[10:11], v[0:1], v[4:5]
	v_mul_f64 v[0:1], v[12:13], v[0:1]
	v_mul_f64 v[4:5], v[4:5], s[2:3]
	v_fma_f64 v[0:1], v[10:11], v[2:3], -v[0:1]
	v_mul_f64 v[6:7], v[0:1], s[2:3]
	ds_read_b128 v[0:3], v44 offset:2160
	global_store_dwordx4 v[8:9], v[4:7], off
	s_clause 0x3
	buffer_load_dword v10, off, s[24:27], 0 offset:144
	buffer_load_dword v11, off, s[24:27], 0 offset:148
	;; [unrolled: 1-line block ×4, first 2 shown]
	v_add_co_u32 v8, vcc_lo, v8, s5
	v_add_co_ci_u32_e32 v9, vcc_lo, s4, v9, vcc_lo
	s_waitcnt vmcnt(0) lgkmcnt(0)
	v_mul_f64 v[4:5], v[12:13], v[2:3]
	v_fma_f64 v[4:5], v[10:11], v[0:1], v[4:5]
	v_mul_f64 v[0:1], v[12:13], v[0:1]
	v_mul_f64 v[4:5], v[4:5], s[2:3]
	v_fma_f64 v[0:1], v[10:11], v[2:3], -v[0:1]
	v_mul_f64 v[6:7], v[0:1], s[2:3]
	ds_read_b128 v[0:3], v44 offset:3456
	global_store_dwordx4 v[8:9], v[4:7], off
	s_clause 0x3
	buffer_load_dword v10, off, s[24:27], 0 offset:16
	buffer_load_dword v11, off, s[24:27], 0 offset:20
	;; [unrolled: 1-line block ×4, first 2 shown]
	v_add_co_u32 v8, vcc_lo, v8, s5
	v_add_co_ci_u32_e32 v9, vcc_lo, s4, v9, vcc_lo
	s_waitcnt vmcnt(0) lgkmcnt(0)
	v_mul_f64 v[4:5], v[12:13], v[2:3]
	v_fma_f64 v[4:5], v[10:11], v[0:1], v[4:5]
	v_mul_f64 v[0:1], v[12:13], v[0:1]
	v_mul_f64 v[4:5], v[4:5], s[2:3]
	v_fma_f64 v[0:1], v[10:11], v[2:3], -v[0:1]
	v_mul_f64 v[6:7], v[0:1], s[2:3]
	ds_read_b128 v[0:3], v44 offset:4752
	global_store_dwordx4 v[8:9], v[4:7], off
	s_clause 0x3
	buffer_load_dword v10, off, s[24:27], 0
	buffer_load_dword v11, off, s[24:27], 0 offset:4
	buffer_load_dword v12, off, s[24:27], 0 offset:8
	;; [unrolled: 1-line block ×3, first 2 shown]
	v_add_co_u32 v8, vcc_lo, v8, s5
	v_add_co_ci_u32_e32 v9, vcc_lo, s4, v9, vcc_lo
	s_waitcnt vmcnt(0) lgkmcnt(0)
	v_mul_f64 v[4:5], v[12:13], v[2:3]
	v_fma_f64 v[4:5], v[10:11], v[0:1], v[4:5]
	v_mul_f64 v[0:1], v[12:13], v[0:1]
	v_mul_f64 v[4:5], v[4:5], s[2:3]
	v_fma_f64 v[0:1], v[10:11], v[2:3], -v[0:1]
	v_mul_f64 v[6:7], v[0:1], s[2:3]
	ds_read_b128 v[0:3], v44 offset:6048
	global_store_dwordx4 v[8:9], v[4:7], off
	s_clause 0x3
	buffer_load_dword v10, off, s[24:27], 0 offset:32
	buffer_load_dword v11, off, s[24:27], 0 offset:36
	buffer_load_dword v12, off, s[24:27], 0 offset:40
	buffer_load_dword v13, off, s[24:27], 0 offset:44
	s_waitcnt vmcnt(0) lgkmcnt(0)
	v_mul_f64 v[4:5], v[12:13], v[2:3]
	v_fma_f64 v[4:5], v[10:11], v[0:1], v[4:5]
	v_mul_f64 v[0:1], v[12:13], v[0:1]
	v_mul_f64 v[4:5], v[4:5], s[2:3]
	v_fma_f64 v[0:1], v[10:11], v[2:3], -v[0:1]
	v_mul_f64 v[6:7], v[0:1], s[2:3]
	v_add_co_u32 v0, vcc_lo, v8, s5
	v_add_co_ci_u32_e32 v1, vcc_lo, s4, v9, vcc_lo
	global_store_dwordx4 v[0:1], v[4:7], off
.LBB0_2:
	s_endpgm
	.section	.rodata,"a",@progbits
	.p2align	6, 0x0
	.amdhsa_kernel bluestein_single_back_len405_dim1_dp_op_CI_CI
		.amdhsa_group_segment_fixed_size 25920
		.amdhsa_private_segment_fixed_size 288
		.amdhsa_kernarg_size 104
		.amdhsa_user_sgpr_count 6
		.amdhsa_user_sgpr_private_segment_buffer 1
		.amdhsa_user_sgpr_dispatch_ptr 0
		.amdhsa_user_sgpr_queue_ptr 0
		.amdhsa_user_sgpr_kernarg_segment_ptr 1
		.amdhsa_user_sgpr_dispatch_id 0
		.amdhsa_user_sgpr_flat_scratch_init 0
		.amdhsa_user_sgpr_private_segment_size 0
		.amdhsa_wavefront_size32 1
		.amdhsa_uses_dynamic_stack 0
		.amdhsa_system_sgpr_private_segment_wavefront_offset 1
		.amdhsa_system_sgpr_workgroup_id_x 1
		.amdhsa_system_sgpr_workgroup_id_y 0
		.amdhsa_system_sgpr_workgroup_id_z 0
		.amdhsa_system_sgpr_workgroup_info 0
		.amdhsa_system_vgpr_workitem_id 0
		.amdhsa_next_free_vgpr 256
		.amdhsa_next_free_sgpr 28
		.amdhsa_reserve_vcc 1
		.amdhsa_reserve_flat_scratch 0
		.amdhsa_float_round_mode_32 0
		.amdhsa_float_round_mode_16_64 0
		.amdhsa_float_denorm_mode_32 3
		.amdhsa_float_denorm_mode_16_64 3
		.amdhsa_dx10_clamp 1
		.amdhsa_ieee_mode 1
		.amdhsa_fp16_overflow 0
		.amdhsa_workgroup_processor_mode 1
		.amdhsa_memory_ordered 1
		.amdhsa_forward_progress 0
		.amdhsa_shared_vgpr_count 0
		.amdhsa_exception_fp_ieee_invalid_op 0
		.amdhsa_exception_fp_denorm_src 0
		.amdhsa_exception_fp_ieee_div_zero 0
		.amdhsa_exception_fp_ieee_overflow 0
		.amdhsa_exception_fp_ieee_underflow 0
		.amdhsa_exception_fp_ieee_inexact 0
		.amdhsa_exception_int_div_zero 0
	.end_amdhsa_kernel
	.text
.Lfunc_end0:
	.size	bluestein_single_back_len405_dim1_dp_op_CI_CI, .Lfunc_end0-bluestein_single_back_len405_dim1_dp_op_CI_CI
                                        ; -- End function
	.section	.AMDGPU.csdata,"",@progbits
; Kernel info:
; codeLenInByte = 19524
; NumSgprs: 30
; NumVgprs: 256
; ScratchSize: 288
; MemoryBound: 0
; FloatMode: 240
; IeeeMode: 1
; LDSByteSize: 25920 bytes/workgroup (compile time only)
; SGPRBlocks: 3
; VGPRBlocks: 31
; NumSGPRsForWavesPerEU: 30
; NumVGPRsForWavesPerEU: 256
; Occupancy: 4
; WaveLimiterHint : 1
; COMPUTE_PGM_RSRC2:SCRATCH_EN: 1
; COMPUTE_PGM_RSRC2:USER_SGPR: 6
; COMPUTE_PGM_RSRC2:TRAP_HANDLER: 0
; COMPUTE_PGM_RSRC2:TGID_X_EN: 1
; COMPUTE_PGM_RSRC2:TGID_Y_EN: 0
; COMPUTE_PGM_RSRC2:TGID_Z_EN: 0
; COMPUTE_PGM_RSRC2:TIDIG_COMP_CNT: 0
	.text
	.p2alignl 6, 3214868480
	.fill 48, 4, 3214868480
	.type	__hip_cuid_8ffa15049365c653,@object ; @__hip_cuid_8ffa15049365c653
	.section	.bss,"aw",@nobits
	.globl	__hip_cuid_8ffa15049365c653
__hip_cuid_8ffa15049365c653:
	.byte	0                               ; 0x0
	.size	__hip_cuid_8ffa15049365c653, 1

	.ident	"AMD clang version 19.0.0git (https://github.com/RadeonOpenCompute/llvm-project roc-6.4.0 25133 c7fe45cf4b819c5991fe208aaa96edf142730f1d)"
	.section	".note.GNU-stack","",@progbits
	.addrsig
	.addrsig_sym __hip_cuid_8ffa15049365c653
	.amdgpu_metadata
---
amdhsa.kernels:
  - .args:
      - .actual_access:  read_only
        .address_space:  global
        .offset:         0
        .size:           8
        .value_kind:     global_buffer
      - .actual_access:  read_only
        .address_space:  global
        .offset:         8
        .size:           8
        .value_kind:     global_buffer
      - .actual_access:  read_only
        .address_space:  global
        .offset:         16
        .size:           8
        .value_kind:     global_buffer
      - .actual_access:  read_only
        .address_space:  global
        .offset:         24
        .size:           8
        .value_kind:     global_buffer
      - .actual_access:  read_only
        .address_space:  global
        .offset:         32
        .size:           8
        .value_kind:     global_buffer
      - .offset:         40
        .size:           8
        .value_kind:     by_value
      - .address_space:  global
        .offset:         48
        .size:           8
        .value_kind:     global_buffer
      - .address_space:  global
        .offset:         56
        .size:           8
        .value_kind:     global_buffer
      - .address_space:  global
        .offset:         64
        .size:           8
        .value_kind:     global_buffer
      - .address_space:  global
        .offset:         72
        .size:           8
        .value_kind:     global_buffer
      - .offset:         80
        .size:           4
        .value_kind:     by_value
      - .address_space:  global
        .offset:         88
        .size:           8
        .value_kind:     global_buffer
      - .address_space:  global
        .offset:         96
        .size:           8
        .value_kind:     global_buffer
    .group_segment_fixed_size: 25920
    .kernarg_segment_align: 8
    .kernarg_segment_size: 104
    .language:       OpenCL C
    .language_version:
      - 2
      - 0
    .max_flat_workgroup_size: 108
    .name:           bluestein_single_back_len405_dim1_dp_op_CI_CI
    .private_segment_fixed_size: 288
    .sgpr_count:     30
    .sgpr_spill_count: 0
    .symbol:         bluestein_single_back_len405_dim1_dp_op_CI_CI.kd
    .uniform_work_group_size: 1
    .uses_dynamic_stack: false
    .vgpr_count:     256
    .vgpr_spill_count: 71
    .wavefront_size: 32
    .workgroup_processor_mode: 1
amdhsa.target:   amdgcn-amd-amdhsa--gfx1030
amdhsa.version:
  - 1
  - 2
...

	.end_amdgpu_metadata
